;; amdgpu-corpus repo=ROCm/rocFFT kind=compiled arch=gfx1201 opt=O3
	.text
	.amdgcn_target "amdgcn-amd-amdhsa--gfx1201"
	.amdhsa_code_object_version 6
	.protected	bluestein_single_fwd_len1248_dim1_half_op_CI_CI ; -- Begin function bluestein_single_fwd_len1248_dim1_half_op_CI_CI
	.globl	bluestein_single_fwd_len1248_dim1_half_op_CI_CI
	.p2align	8
	.type	bluestein_single_fwd_len1248_dim1_half_op_CI_CI,@function
bluestein_single_fwd_len1248_dim1_half_op_CI_CI: ; @bluestein_single_fwd_len1248_dim1_half_op_CI_CI
; %bb.0:
	s_load_b128 s[16:19], s[0:1], 0x28
	v_mul_u32_u24_e32 v1, 0x4ed, v0
	s_mov_b32 s2, exec_lo
	v_mov_b32_e32 v13, 0
	s_delay_alu instid0(VALU_DEP_2) | instskip(NEXT) | instid1(VALU_DEP_1)
	v_lshrrev_b32_e32 v1, 16, v1
	v_add_nc_u32_e32 v12, ttmp9, v1
	s_wait_kmcnt 0x0
	s_delay_alu instid0(VALU_DEP_1)
	v_cmpx_gt_u64_e64 s[16:17], v[12:13]
	s_cbranch_execz .LBB0_10
; %bb.1:
	s_clause 0x1
	s_load_b128 s[4:7], s[0:1], 0x18
	s_load_b128 s[8:11], s[0:1], 0x0
	v_mul_lo_u16 v1, v1, 52
	s_movk_i32 s2, 0xf710
	s_mov_b32 s3, -1
                                        ; implicit-def: $vgpr176
                                        ; implicit-def: $vgpr175
                                        ; implicit-def: $vgpr177
	s_delay_alu instid0(VALU_DEP_1) | instskip(NEXT) | instid1(VALU_DEP_1)
	v_sub_nc_u16 v0, v0, v1
	v_and_b32_e32 v87, 0xffff, v0
	s_wait_kmcnt 0x0
	s_load_b128 s[12:15], s[4:5], 0x0
	s_wait_kmcnt 0x0
	v_mad_co_u64_u32 v[1:2], null, s14, v12, 0
	v_mad_co_u64_u32 v[3:4], null, s12, v87, 0
	s_mul_u64 s[4:5], s[12:13], 0x9c0
	s_mul_u64 s[2:3], s[12:13], s[2:3]
	s_delay_alu instid0(VALU_DEP_1) | instskip(NEXT) | instid1(VALU_DEP_1)
	v_mad_co_u64_u32 v[7:8], null, s15, v12, v[2:3]
	v_mov_b32_e32 v2, v7
	v_or_b32_e32 v10, 0x340, v87
	v_add_co_u32 v113, null, v87, 52
	v_add_co_u32 v138, null, 0x68, v87
	s_delay_alu instid0(VALU_DEP_3)
	v_mad_co_u64_u32 v[5:6], null, s12, v10, 0
	v_lshlrev_b64_e32 v[1:2], 2, v[1:2]
	v_add_co_u32 v139, null, 0x9c, v87
	v_add_co_u32 v169, null, 0xd0, v87
	;; [unrolled: 1-line block ×3, first 2 shown]
	v_mad_co_u64_u32 v[8:9], null, s13, v87, v[4:5]
	v_lshlrev_b32_e32 v83, 2, v87
	v_lshlrev_b32_e32 v40, 3, v87
	v_add_co_u32 v167, null, 0x138, v87
	v_add_co_u32 v166, null, 0x16c, v87
	v_mov_b32_e32 v4, v8
	s_clause 0xf
	global_load_b32 v82, v83, s[8:9] offset:2912
	global_load_b32 v78, v83, s[8:9] offset:3120
	global_load_b32 v94, v83, s[8:9]
	global_load_b32 v90, v83, s[8:9] offset:208
	global_load_b32 v85, v83, s[8:9] offset:416
	;; [unrolled: 1-line block ×13, first 2 shown]
	scratch_store_b32 off, v10, off         ; 4-byte Folded Spill
	v_mad_co_u64_u32 v[9:10], null, s13, v10, v[6:7]
	v_lshlrev_b64_e32 v[3:4], 2, v[3:4]
	v_add_co_u32 v7, vcc_lo, s18, v1
	v_add_co_ci_u32_e32 v8, vcc_lo, s19, v2, vcc_lo
	s_clause 0x7
	global_load_b32 v75, v83, s[8:9] offset:3328
	global_load_b32 v71, v83, s[8:9] offset:3536
	;; [unrolled: 1-line block ×8, first 2 shown]
	v_mov_b32_e32 v6, v9
	v_add_co_u32 v3, vcc_lo, v7, v3
	s_wait_alu 0xfffd
	v_add_co_ci_u32_e32 v4, vcc_lo, v8, v4, vcc_lo
	s_delay_alu instid0(VALU_DEP_3)
	v_lshlrev_b64_e32 v[1:2], 2, v[5:6]
	v_add_co_u32 v135, null, 0x1a0, v87
	global_load_b32 v30, v[3:4], off
	v_add_co_u32 v136, null, 0x1d4, v87
	v_add_co_u32 v1, vcc_lo, v7, v1
	s_wait_alu 0xfffd
	v_add_co_ci_u32_e32 v2, vcc_lo, v8, v2, vcc_lo
	v_add_co_u32 v5, vcc_lo, v3, s4
	s_wait_alu 0xfffd
	v_add_co_ci_u32_e32 v6, vcc_lo, s5, v4, vcc_lo
	v_add_co_u32 v134, null, 0x208, v87
	v_add_co_u32 v137, null, 0x23c, v87
	s_clause 0x1
	global_load_b32 v32, v[5:6], off
	global_load_b32 v31, v[1:2], off
	v_add_co_u32 v3, vcc_lo, v5, s2
	s_wait_alu 0xfffd
	v_add_co_ci_u32_e32 v4, vcc_lo, s3, v6, vcc_lo
	v_lshlrev_b32_e32 v47, 3, v113
	s_delay_alu instid0(VALU_DEP_3) | instskip(SKIP_1) | instid1(VALU_DEP_3)
	v_add_co_u32 v1, vcc_lo, v3, s4
	s_wait_alu 0xfffd
	v_add_co_ci_u32_e32 v2, vcc_lo, s5, v4, vcc_lo
	global_load_b32 v33, v[3:4], off
	v_add_co_u32 v5, vcc_lo, v1, s2
	s_wait_alu 0xfffd
	v_add_co_ci_u32_e32 v6, vcc_lo, s3, v2, vcc_lo
	v_lshlrev_b32_e32 v46, 3, v138
	v_lshlrev_b32_e32 v45, 3, v139
	;; [unrolled: 1-line block ×3, first 2 shown]
	s_clause 0x1
	global_load_b32 v28, v[5:6], off
	global_load_b32 v29, v[1:2], off
	v_add_co_u32 v3, vcc_lo, v5, s4
	s_wait_alu 0xfffd
	v_add_co_ci_u32_e32 v4, vcc_lo, s5, v6, vcc_lo
	v_lshlrev_b32_e32 v43, 3, v168
	s_delay_alu instid0(VALU_DEP_3) | instskip(SKIP_1) | instid1(VALU_DEP_3)
	v_add_co_u32 v7, vcc_lo, v3, s2
	s_wait_alu 0xfffd
	v_add_co_ci_u32_e32 v8, vcc_lo, s3, v4, vcc_lo
	global_load_b32 v27, v[3:4], off
	global_load_b32 v26, v[7:8], off
	v_add_co_u32 v1, vcc_lo, v7, s4
	s_wait_alu 0xfffd
	v_add_co_ci_u32_e32 v2, vcc_lo, s5, v8, vcc_lo
	v_add_nc_u32_e32 v7, 0xa00, v83
	s_delay_alu instid0(VALU_DEP_3) | instskip(SKIP_1) | instid1(VALU_DEP_3)
	v_add_co_u32 v5, vcc_lo, v1, s2
	s_wait_alu 0xfffd
	v_add_co_ci_u32_e32 v6, vcc_lo, s3, v2, vcc_lo
	global_load_b32 v25, v[1:2], off
	global_load_b32 v24, v[5:6], off
	v_mad_co_u64_u32 v[9:10], null, 0xd0, s12, v[5:6]
	v_add_nc_u32_e32 v5, 0x400, v83
	v_add_nc_u32_e32 v6, 0x1000, v83
	v_and_b32_e32 v8, 1, v87
	v_lshlrev_b32_e32 v42, 3, v167
	v_lshlrev_b32_e32 v41, 3, v166
	v_dual_mov_b32 v3, v10 :: v_dual_lshlrev_b32 v122, 3, v135
	v_add_co_u32 v1, vcc_lo, v9, s4
	v_lshlrev_b32_e32 v121, 3, v136
	v_lshlrev_b32_e32 v120, 3, v134
	s_delay_alu instid0(VALU_DEP_4) | instskip(SKIP_2) | instid1(VALU_DEP_3)
	v_mad_co_u64_u32 v[3:4], null, 0xd0, s13, v[3:4]
	v_lshlrev_b32_e32 v117, 3, v137
	v_lshlrev_b32_e32 v170, 1, v87
	v_mov_b32_e32 v10, v3
	s_wait_alu 0xfffd
	s_delay_alu instid0(VALU_DEP_1)
	v_add_co_ci_u32_e32 v2, vcc_lo, s5, v10, vcc_lo
	v_add_co_u32 v3, vcc_lo, v1, s2
	global_load_b32 v23, v[9:10], off
	s_wait_alu 0xfffd
	v_add_co_ci_u32_e32 v4, vcc_lo, s3, v2, vcc_lo
	global_load_b32 v22, v[1:2], off
	global_load_b32 v21, v[3:4], off
	v_add_co_u32 v1, vcc_lo, v3, s4
	s_wait_alu 0xfffd
	v_add_co_ci_u32_e32 v2, vcc_lo, s5, v4, vcc_lo
	s_delay_alu instid0(VALU_DEP_2) | instskip(SKIP_1) | instid1(VALU_DEP_2)
	v_add_co_u32 v3, vcc_lo, v1, s2
	s_wait_alu 0xfffd
	v_add_co_ci_u32_e32 v4, vcc_lo, s3, v2, vcc_lo
	global_load_b32 v20, v[1:2], off
	v_add_co_u32 v1, vcc_lo, v3, s4
	s_wait_alu 0xfffd
	v_add_co_ci_u32_e32 v2, vcc_lo, s5, v4, vcc_lo
	global_load_b32 v19, v[3:4], off
	global_load_b32 v18, v[1:2], off
	v_add_co_u32 v1, vcc_lo, v1, s2
	s_wait_alu 0xfffd
	v_add_co_ci_u32_e32 v2, vcc_lo, s3, v2, vcc_lo
	s_delay_alu instid0(VALU_DEP_2) | instskip(SKIP_1) | instid1(VALU_DEP_2)
	v_add_co_u32 v3, vcc_lo, v1, s4
	s_wait_alu 0xfffd
	v_add_co_ci_u32_e32 v4, vcc_lo, s5, v2, vcc_lo
	global_load_b32 v17, v[1:2], off
	global_load_b32 v16, v[3:4], off
	v_add_co_u32 v1, vcc_lo, v3, s2
	s_wait_alu 0xfffd
	v_add_co_ci_u32_e32 v2, vcc_lo, s3, v4, vcc_lo
	s_delay_alu instid0(VALU_DEP_2) | instskip(SKIP_1) | instid1(VALU_DEP_2)
	v_add_co_u32 v3, vcc_lo, v1, s4
	s_wait_alu 0xfffd
	v_add_co_ci_u32_e32 v4, vcc_lo, s5, v2, vcc_lo
	global_load_b32 v15, v[1:2], off
	v_add_co_u32 v1, vcc_lo, v3, s2
	s_wait_alu 0xfffd
	v_add_co_ci_u32_e32 v2, vcc_lo, s3, v4, vcc_lo
	global_load_b32 v14, v[3:4], off
	;; [unrolled: 4-line block ×5, first 2 shown]
	global_load_b32 v10, v[3:4], off
	v_add_nc_u32_e32 v3, 0x800, v83
	v_add_nc_u32_e32 v2, 0xc00, v83
	;; [unrolled: 1-line block ×4, first 2 shown]
	s_load_b128 s[4:7], s[6:7], 0x0
	s_load_b64 s[2:3], s[0:1], 0x38
	v_cmp_gt_u16_e32 vcc_lo, 44, v0
	s_wait_loadcnt 0x2d
	v_lshrrev_b32_e32 v99, 16, v94
	s_wait_loadcnt 0x2c
	v_lshrrev_b32_e32 v97, 16, v90
	;; [unrolled: 2-line block ×8, first 2 shown]
	v_lshrrev_b32_e32 v92, 16, v82
	s_wait_loadcnt 0x22
	v_lshrrev_b32_e32 v96, 16, v89
	s_wait_loadcnt 0x21
	v_lshrrev_b32_e32 v98, 16, v93
	v_lshrrev_b32_e32 v88, 16, v78
	;; [unrolled: 1-line block ×3, first 2 shown]
	s_wait_loadcnt 0x1f
	v_lshrrev_b32_e32 v84, 16, v75
	s_wait_loadcnt 0x1e
	v_lshrrev_b32_e32 v79, 16, v71
	;; [unrolled: 2-line block ×5, first 2 shown]
	v_lshrrev_b32_e32 v64, 16, v56
	s_wait_loadcnt 0x1a
	v_lshrrev_b32_e32 v61, 16, v54
	v_lshrrev_b32_e32 v60, 16, v52
	s_wait_loadcnt 0x19
	v_lshrrev_b32_e32 v57, 16, v51
	;; [unrolled: 3-line block ×3, first 2 shown]
	s_wait_loadcnt 0x17
	v_lshrrev_b32_e32 v34, 16, v30
	v_mul_f16_e32 v35, v99, v30
	s_delay_alu instid0(VALU_DEP_2) | instskip(NEXT) | instid1(VALU_DEP_2)
	v_mul_f16_e32 v38, v99, v34
	v_fma_f16 v34, v94, v34, -v35
	s_delay_alu instid0(VALU_DEP_2)
	v_fmac_f16_e32 v38, v94, v30
	s_wait_loadcnt 0x16
	v_lshrrev_b32_e32 v35, 16, v32
	s_wait_loadcnt 0x15
	v_lshrrev_b32_e32 v36, 16, v31
	v_mul_f16_e32 v37, v84, v31
	v_mul_f16_e32 v39, v98, v32
	;; [unrolled: 1-line block ×3, first 2 shown]
	s_delay_alu instid0(VALU_DEP_4) | instskip(NEXT) | instid1(VALU_DEP_4)
	v_mul_f16_e32 v48, v84, v36
	v_fma_f16 v36, v75, v36, -v37
	s_delay_alu instid0(VALU_DEP_4) | instskip(NEXT) | instid1(VALU_DEP_4)
	v_fma_f16 v35, v93, v35, -v39
	v_fmac_f16_e32 v30, v93, v32
	s_wait_loadcnt 0x14
	v_lshrrev_b32_e32 v37, 16, v33
	v_mul_f16_e32 v39, v97, v33
	v_fmac_f16_e32 v48, v75, v31
	v_pack_b32_f16 v31, v38, v34
	v_pack_b32_f16 v30, v30, v35
	v_mul_f16_e32 v32, v97, v37
	v_fma_f16 v34, v90, v37, -v39
	v_pack_b32_f16 v36, v48, v36
	v_lshlrev_b32_e32 v48, 2, v8
	s_wait_loadcnt 0x12
	v_lshrrev_b32_e32 v37, 16, v29
	v_mul_f16_e32 v38, v96, v29
	v_fmac_f16_e32 v32, v90, v33
	ds_store_b32 v83, v30 offset:2496
	v_mul_f16_e32 v33, v96, v37
	v_fma_f16 v35, v89, v37, -v38
	v_lshrrev_b32_e32 v37, 16, v28
	v_mul_f16_e32 v38, v95, v28
	v_pack_b32_f16 v30, v32, v34
	v_fmac_f16_e32 v33, v89, v29
	s_wait_loadcnt 0x11
	v_lshrrev_b32_e32 v34, 16, v27
	v_mul_f16_e32 v29, v95, v37
	v_fma_f16 v32, v85, v37, -v38
	v_mul_f16_e32 v37, v92, v27
	ds_store_2addr_b32 v83, v31, v30 offset1:52
	s_wait_loadcnt 0x10
	v_lshrrev_b32_e32 v31, 16, v26
	v_fmac_f16_e32 v29, v85, v28
	v_mul_f16_e32 v28, v92, v34
	v_fma_f16 v34, v82, v34, -v37
	v_pack_b32_f16 v30, v33, v35
	v_mul_f16_e32 v33, v91, v26
	v_pack_b32_f16 v29, v29, v32
	v_fmac_f16_e32 v28, v82, v27
	v_mul_f16_e32 v27, v91, v31
	s_wait_loadcnt 0xf
	v_lshrrev_b32_e32 v32, 16, v25
	v_fma_f16 v31, v80, v31, -v33
	v_mul_f16_e32 v33, v88, v25
	v_pack_b32_f16 v28, v28, v34
	s_wait_loadcnt 0xe
	v_lshrrev_b32_e32 v34, 16, v24
	v_fmac_f16_e32 v27, v80, v26
	v_mul_f16_e32 v26, v88, v32
	v_fma_f16 v32, v78, v32, -v33
	v_mul_f16_e32 v33, v86, v24
	v_mul_f16_e32 v35, v86, v34
	v_pack_b32_f16 v27, v27, v31
	ds_store_2addr_b32 v3, v30, v28 offset0:164 offset1:216
	v_fmac_f16_e32 v26, v78, v25
	v_fma_f16 v25, v76, v34, -v33
	v_fmac_f16_e32 v35, v76, v24
	ds_store_2addr_b32 v83, v29, v27 offset0:104 offset1:156
	v_pack_b32_f16 v26, v26, v32
	v_pack_b32_f16 v25, v35, v25
	ds_store_2addr_b32 v2, v26, v36 offset0:12 offset1:64
	s_wait_loadcnt 0xd
	v_lshrrev_b32_e32 v24, 16, v23
	v_mul_f16_e32 v27, v81, v23
	s_wait_loadcnt 0xc
	v_lshrrev_b32_e32 v29, 16, v22
	s_delay_alu instid0(VALU_DEP_3) | instskip(NEXT) | instid1(VALU_DEP_3)
	v_mul_f16_e32 v28, v81, v24
	v_fma_f16 v24, v72, v24, -v27
	s_wait_loadcnt 0xb
	v_lshrrev_b32_e32 v27, 16, v21
	v_mul_f16_e32 v26, v79, v22
	v_mul_f16_e32 v30, v77, v21
	v_fmac_f16_e32 v28, v72, v23
	v_mul_f16_e32 v23, v79, v29
	s_delay_alu instid0(VALU_DEP_4) | instskip(NEXT) | instid1(VALU_DEP_3)
	v_fma_f16 v26, v71, v29, -v26
	v_pack_b32_f16 v24, v28, v24
	s_delay_alu instid0(VALU_DEP_3)
	v_fmac_f16_e32 v23, v71, v22
	v_mul_f16_e32 v22, v77, v27
	s_wait_loadcnt 0xa
	v_lshrrev_b32_e32 v28, 16, v20
	v_fma_f16 v27, v67, v27, -v30
	v_mul_f16_e32 v29, v74, v20
	ds_store_2addr_b32 v4, v25, v24 offset0:80 offset1:132
	v_fmac_f16_e32 v22, v67, v21
	v_mul_f16_e32 v21, v74, v28
	s_wait_loadcnt 0x9
	v_lshrrev_b32_e32 v24, 16, v19
	v_pack_b32_f16 v23, v23, v26
	v_fma_f16 v25, v66, v28, -v29
	v_mul_f16_e32 v26, v73, v19
	v_pack_b32_f16 v22, v22, v27
	v_fmac_f16_e32 v21, v66, v20
	v_mul_f16_e32 v20, v73, v24
	s_wait_loadcnt 0x8
	v_lshrrev_b32_e32 v27, 16, v18
	v_fma_f16 v24, v63, v24, -v26
	s_wait_loadcnt 0x7
	v_lshrrev_b32_e32 v26, 16, v17
	v_pack_b32_f16 v21, v21, v25
	v_fmac_f16_e32 v20, v63, v19
	v_mul_f16_e32 v19, v69, v27
	v_mul_f16_e32 v28, v69, v18
	ds_store_2addr_b32 v2, v23, v21 offset0:116 offset1:168
	v_pack_b32_f16 v20, v20, v24
	v_fmac_f16_e32 v19, v62, v18
	v_mul_f16_e32 v18, v68, v26
	s_wait_loadcnt 0x6
	v_lshrrev_b32_e32 v23, 16, v16
	v_fma_f16 v25, v62, v27, -v28
	v_mul_f16_e32 v27, v68, v17
	ds_store_2addr_b32 v5, v22, v20 offset0:56 offset1:108
	v_fmac_f16_e32 v18, v59, v17
	v_mul_f16_e32 v17, v65, v23
	s_wait_loadcnt 0x5
	v_lshrrev_b32_e32 v20, 16, v15
	v_fma_f16 v21, v59, v26, -v27
	v_mul_f16_e32 v24, v65, v16
	v_mul_f16_e32 v22, v64, v15
	v_fmac_f16_e32 v17, v58, v16
	v_mul_f16_e32 v16, v64, v20
	v_pack_b32_f16 v18, v18, v21
	v_fma_f16 v23, v58, v23, -v24
	s_wait_loadcnt 0x4
	v_lshrrev_b32_e32 v21, 16, v14
	v_fma_f16 v20, v56, v20, -v22
	v_mul_f16_e32 v22, v61, v14
	v_fmac_f16_e32 v16, v56, v15
	s_wait_loadcnt 0x3
	v_lshrrev_b32_e32 v15, 16, v13
	v_pack_b32_f16 v17, v17, v23
	v_mul_f16_e32 v23, v61, v21
	v_fma_f16 v21, v54, v21, -v22
	v_mul_f16_e32 v22, v60, v13
	v_pack_b32_f16 v16, v16, v20
	v_mul_f16_e32 v20, v60, v15
	v_fmac_f16_e32 v23, v54, v14
	s_wait_loadcnt 0x2
	v_lshrrev_b32_e32 v14, 16, v9
	v_fma_f16 v15, v52, v15, -v22
	v_mul_f16_e32 v22, v57, v9
	v_fmac_f16_e32 v20, v52, v13
	s_wait_loadcnt 0x1
	v_lshrrev_b32_e32 v13, 16, v11
	v_pack_b32_f16 v19, v19, v25
	s_wait_loadcnt 0x0
	v_lshrrev_b32_e32 v25, 16, v10
	v_mul_f16_e32 v24, v57, v14
	v_fma_f16 v14, v51, v14, -v22
	v_mul_f16_e32 v22, v55, v11
	v_mul_f16_e32 v26, v55, v13
	;; [unrolled: 1-line block ×4, first 2 shown]
	v_fmac_f16_e32 v24, v51, v9
	v_fma_f16 v9, v50, v13, -v22
	v_fmac_f16_e32 v26, v50, v11
	v_fma_f16 v11, v49, v25, -v27
	v_fmac_f16_e32 v28, v49, v10
	v_pack_b32_f16 v10, v23, v21
	v_pack_b32_f16 v14, v24, v14
	;; [unrolled: 1-line block ×5, first 2 shown]
	ds_store_2addr_b32 v1, v19, v17 offset0:92 offset1:144
	ds_store_2addr_b32 v5, v18, v16 offset0:160 offset1:212
	;; [unrolled: 1-line block ×4, first 2 shown]
	ds_store_b32 v83, v11 offset:4784
	global_wb scope:SCOPE_SE
	s_wait_storecnt_dscnt 0x0
	s_wait_kmcnt 0x0
	s_barrier_signal -1
	s_barrier_wait -1
	global_inv scope:SCOPE_SE
	ds_load_2addr_b32 v[9:10], v83 offset1:52
	ds_load_2addr_b32 v[13:14], v3 offset0:112 offset1:164
	ds_load_2addr_b32 v[15:16], v83 offset0:104 offset1:156
	ds_load_2addr_b32 v[17:18], v7 offset0:88 offset1:140
	ds_load_2addr_b32 v[19:20], v4 offset0:80 offset1:132
	ds_load_2addr_b32 v[21:22], v2 offset0:64 offset1:116
	ds_load_2addr_b32 v[23:24], v5 offset0:56 offset1:108
	ds_load_2addr_b32 v[25:26], v2 offset0:168 offset1:220
	ds_load_2addr_b32 v[27:28], v5 offset0:160 offset1:212
	ds_load_2addr_b32 v[29:30], v6 offset0:16 offset1:68
	ds_load_2addr_b32 v[31:32], v3 offset0:8 offset1:60
	ds_load_2addr_b32 v[33:34], v6 offset0:120 offset1:172
	global_wb scope:SCOPE_SE
	s_wait_dscnt 0x0
	s_barrier_signal -1
	s_barrier_wait -1
	global_inv scope:SCOPE_SE
	v_pk_add_f16 v35, v9, v13 neg_lo:[0,1] neg_hi:[0,1]
	v_pk_add_f16 v11, v10, v14 neg_lo:[0,1] neg_hi:[0,1]
	;; [unrolled: 1-line block ×12, first 2 shown]
	v_pk_fma_f16 v34, v9, 2.0, v35 op_sel_hi:[1,0,1] neg_lo:[0,0,1] neg_hi:[0,0,1]
	v_pk_fma_f16 v10, v10, 2.0, v11 op_sel_hi:[1,0,1] neg_lo:[0,0,1] neg_hi:[0,0,1]
	;; [unrolled: 1-line block ×12, first 2 shown]
	ds_store_b64 v40, v[34:35]
	ds_store_b64 v47, v[10:11]
	;; [unrolled: 1-line block ×12, first 2 shown]
	global_wb scope:SCOPE_SE
	s_wait_dscnt 0x0
	s_barrier_signal -1
	s_barrier_wait -1
	global_inv scope:SCOPE_SE
	global_load_b32 v39, v48, s[10:11]
	v_and_or_b32 v9, 0x7c, v170, v8
	v_lshlrev_b32_e32 v10, 1, v113
	v_lshlrev_b32_e32 v11, 1, v138
	;; [unrolled: 1-line block ×12, first 2 shown]
	v_and_or_b32 v9, 0xfc, v10, v8
	v_and_or_b32 v10, 0x1fc, v11, v8
	;; [unrolled: 1-line block ×11, first 2 shown]
	v_lshlrev_b32_e32 v128, 2, v9
	v_lshlrev_b32_e32 v127, 2, v10
	;; [unrolled: 1-line block ×3, first 2 shown]
	ds_load_2addr_b32 v[8:9], v3 offset0:112 offset1:164
	ds_load_2addr_b32 v[10:11], v83 offset1:52
	v_lshlrev_b32_e32 v125, 2, v13
	v_lshlrev_b32_e32 v124, 2, v14
	;; [unrolled: 1-line block ×4, first 2 shown]
	ds_load_2addr_b32 v[13:14], v7 offset0:88 offset1:140
	ds_load_2addr_b32 v[15:16], v83 offset0:104 offset1:156
	v_lshlrev_b32_e32 v116, 2, v17
	v_lshlrev_b32_e32 v115, 2, v18
	;; [unrolled: 1-line block ×4, first 2 shown]
	ds_load_2addr_b32 v[17:18], v2 offset0:64 offset1:116
	ds_load_2addr_b32 v[28:29], v4 offset0:80 offset1:132
	;; [unrolled: 1-line block ×8, first 2 shown]
	global_wb scope:SCOPE_SE
	s_wait_loadcnt_dscnt 0x0
	s_barrier_signal -1
	s_barrier_wait -1
	global_inv scope:SCOPE_SE
	v_lshrrev_b32_e32 v23, 16, v8
	v_lshrrev_b32_e32 v25, 16, v9
	;; [unrolled: 1-line block ×25, first 2 shown]
	s_delay_alu instid0(VALU_DEP_1)
	v_mul_f16_e64 v133, v23, v118
	v_mul_f16_e64 v140, v8, v118
	;; [unrolled: 1-line block ×24, first 2 shown]
	v_fma_f16 v8, v8, v39, -v133
	v_fmac_f16_e64 v140, v23, v39
	v_fma_f16 v9, v9, v39, -v141
	v_fmac_f16_e64 v142, v25, v39
	v_fmac_f16_e64 v143, v27, v39
	v_fma_f16 v13, v13, v39, -v144
	v_fma_f16 v14, v14, v39, -v145
	v_fmac_f16_e64 v146, v37, v39
	v_fmac_f16_e64 v147, v100, v39
	v_fma_f16 v17, v17, v39, -v148
	;; [unrolled: 4-line block ×3, first 2 shown]
	v_fmac_f16_e64 v155, v108, v39
	v_fma_f16 v23, v19, v39, -v156
	v_fma_f16 v20, v20, v39, -v157
	v_fmac_f16_e64 v158, v110, v39
	v_fmac_f16_e64 v159, v112, v39
	v_fma_f16 v6, v6, v39, -v160
	v_fma_f16 v22, v22, v39, -v153
	v_fmac_f16_e64 v154, v106, v39
	v_fma_f16 v7, v7, v39, -v161
	v_fmac_f16_e64 v164, v131, v39
	v_sub_f16_e64 v37, v24, v140
	v_sub_f16_e32 v8, v10, v8
	v_sub_f16_e32 v9, v11, v9
	v_sub_f16_e64 v100, v26, v142
	v_sub_f16_e64 v102, v36, v143
	v_sub_f16_e32 v104, v15, v13
	v_sub_f16_e32 v14, v16, v14
	v_sub_f16_e64 v106, v38, v146
	;; [unrolled: 4-line block ×3, first 2 shown]
	v_sub_f16_e64 v140, v105, v151
	v_sub_f16_e32 v13, v30, v21
	v_sub_f16_e64 v163, v109, v155
	v_sub_f16_e32 v27, v32, v23
	v_sub_f16_e32 v21, v33, v20
	v_sub_f16_e64 v161, v111, v158
	v_sub_f16_e64 v159, v130, v159
	v_sub_f16_e32 v23, v34, v6
	v_sub_f16_e32 v19, v31, v22
	v_sub_f16_e64 v162, v107, v154
	v_sub_f16_e32 v25, v35, v7
	v_sub_f16_e64 v160, v132, v164
	v_fma_f16 v6, v24, 2.0, -v37
	v_pack_b32_f16 v7, v8, v37
	v_fma_f16 v8, v10, 2.0, -v8
	v_fma_f16 v10, v11, 2.0, -v9
	;; [unrolled: 1-line block ×7, first 2 shown]
	v_pack_b32_f16 v9, v9, v100
	v_pack_b32_f16 v36, v104, v102
	v_fma_f16 v100, v101, 2.0, -v108
	v_pack_b32_f16 v101, v17, v108
	v_fma_f16 v17, v28, 2.0, -v17
	v_fma_f16 v29, v29, 2.0, -v18
	;; [unrolled: 1-line block ×11, first 2 shown]
	v_pack_b32_f16 v38, v14, v106
	v_fma_f16 v14, v31, 2.0, -v19
	v_fma_f16 v164, v107, 2.0, -v162
	;; [unrolled: 1-line block ×4, first 2 shown]
	v_pack_b32_f16 v6, v8, v6
	v_pack_b32_f16 v8, v10, v11
	;; [unrolled: 1-line block ×19, first 2 shown]
	ds_store_2addr_b32 v129, v6, v7 offset1:2
	ds_store_2addr_b32 v128, v8, v9 offset1:2
	;; [unrolled: 1-line block ×12, first 2 shown]
	global_wb scope:SCOPE_SE
	s_wait_dscnt 0x0
	s_barrier_signal -1
	s_barrier_wait -1
	global_inv scope:SCOPE_SE
	ds_load_2addr_b32 v[33:34], v5 offset0:128 offset1:224
	ds_load_b32 v173, v83 offset:4608
	ds_load_2addr_b32 v[17:18], v83 offset1:96
	ds_load_2addr_b32 v[37:38], v4 offset0:64 offset1:160
	ds_load_2addr_b32 v[35:36], v3 offset0:64 offset1:160
	ds_load_2addr_b32 v[31:32], v2 offset1:96
	ds_load_2addr_b32 v[29:30], v1 offset0:64 offset1:160
	v_add_co_u32 v15, s0, s8, v83
	s_wait_alu 0xf1ff
	v_add_co_ci_u32_e64 v16, null, s9, 0, s0
	s_and_saveexec_b32 s0, vcc_lo
	s_cbranch_execz .LBB0_3
; %bb.2:
	v_add_nc_u32_e32 v0, 0x600, v83
	ds_load_2addr_b32 v[13:14], v83 offset0:52 offset1:148
	ds_load_2addr_b32 v[19:20], v4 offset0:116 offset1:212
	;; [unrolled: 1-line block ×6, first 2 shown]
	ds_load_b32 v175, v83 offset:4816
	s_wait_dscnt 0x6
	v_lshrrev_b32_e32 v140, 16, v13
	v_lshrrev_b32_e32 v164, 16, v14
	s_wait_dscnt 0x5
	v_lshrrev_b32_e32 v162, 16, v19
	v_lshrrev_b32_e32 v171, 16, v20
	;; [unrolled: 3-line block ×6, first 2 shown]
	s_wait_dscnt 0x0
	v_lshrrev_b32_e32 v177, 16, v175
.LBB0_3:
	s_wait_alu 0xfffe
	s_or_b32 exec_lo, exec_lo, s0
	v_and_b32_e32 v100, 3, v87
	s_wait_dscnt 0x4
	v_lshrrev_b32_e32 v192, 16, v18
	s_wait_dscnt 0x3
	v_lshrrev_b32_e32 v191, 16, v37
	;; [unrolled: 2-line block ×3, first 2 shown]
	v_lshrrev_b32_e32 v190, 16, v38
	v_mul_u32_u24_e32 v0, 12, v100
	v_lshrrev_b32_e32 v183, 16, v29
	v_lshrrev_b32_e32 v157, 16, v17
	;; [unrolled: 1-line block ×4, first 2 shown]
	v_lshlrev_b32_e32 v8, 2, v0
	v_lshrrev_b32_e32 v188, 16, v34
	v_lshrrev_b32_e32 v187, 16, v35
	;; [unrolled: 1-line block ×4, first 2 shown]
	s_clause 0x2
	global_load_b128 v[4:7], v8, s[10:11] offset:8
	global_load_b128 v[0:3], v8, s[10:11] offset:24
	;; [unrolled: 1-line block ×3, first 2 shown]
	v_lshrrev_b32_e32 v185, 16, v31
	global_wb scope:SCOPE_SE
	s_wait_loadcnt 0x0
	s_barrier_signal -1
	s_barrier_wait -1
	global_inv scope:SCOPE_SE
	v_lshrrev_b32_e32 v113, 2, v113
	v_lshrrev_b32_e32 v110, 16, v4
	;; [unrolled: 1-line block ×8, first 2 shown]
	v_mul_f16_e64 v193, v192, v110
	v_lshrrev_b32_e32 v111, 16, v6
	v_lshrrev_b32_e32 v103, 16, v0
	;; [unrolled: 1-line block ×4, first 2 shown]
	v_mul_f16_e64 v180, v18, v110
	v_mul_f16_e64 v194, v191, v112
	;; [unrolled: 1-line block ×8, first 2 shown]
	v_fma_f16 v193, v18, v4, -v193
	v_mul_f16_e64 v179, v37, v112
	v_mul_f16_e64 v195, v190, v111
	;; [unrolled: 1-line block ×12, first 2 shown]
	v_fmac_f16_e64 v180, v192, v4
	v_fma_f16 v37, v37, v5, -v194
	v_fmac_f16_e64 v154, v183, v9
	v_fma_f16 v183, v30, v10, -v203
	v_fma_f16 v30, v27, v7, -v207
	;; [unrolled: 1-line block ×5, first 2 shown]
	v_add_f16_e64 v14, v17, v193
	v_mul_f16_e64 v178, v38, v111
	v_mul_f16_e64 v196, v189, v109
	;; [unrolled: 1-line block ×6, first 2 shown]
	v_fmac_f16_e64 v179, v191, v5
	v_fma_f16 v38, v38, v6, -v195
	v_fmac_f16_e64 v153, v184, v8
	v_fma_f16 v184, v29, v9, -v202
	v_fma_f16 v29, v28, v0, -v208
	;; [unrolled: 1-line block ×4, first 2 shown]
	v_add_f16_e64 v24, v157, v180
	v_add_f16_e32 v14, v14, v37
	v_mul_f16_e64 v158, v33, v109
	v_mul_f16_e64 v197, v188, v103
	v_fmac_f16_e64 v178, v190, v6
	v_fma_f16 v190, v33, v7, -v196
	v_add_f16_e64 v24, v24, v179
	v_add_f16_e32 v14, v14, v38
	v_lshrrev_b32_e32 v107, 16, v11
	v_mul_f16_e64 v132, v34, v103
	v_mul_f16_e64 v198, v187, v101
	v_fmac_f16_e64 v158, v189, v7
	v_fma_f16 v189, v34, v0, -v197
	v_add_f16_e64 v24, v24, v178
	v_add_f16_e64 v14, v14, v190
	v_mul_f16_e64 v130, v35, v101
	v_mul_f16_e64 v199, v186, v102
	;; [unrolled: 1-line block ×4, first 2 shown]
	v_fmac_f16_e64 v132, v188, v0
	v_fma_f16 v33, v35, v1, -v198
	v_add_f16_e64 v24, v24, v158
	v_add_f16_e64 v14, v14, v189
	v_mul_f16_e64 v131, v36, v102
	v_mul_f16_e64 v200, v185, v104
	;; [unrolled: 1-line block ×3, first 2 shown]
	v_fmac_f16_e64 v130, v187, v1
	v_fma_f16 v34, v36, v2, -v199
	v_fma_f16 v173, v173, v11, -v204
	v_fmac_f16_e64 v156, v181, v11
	v_add_f16_e64 v24, v24, v132
	v_add_f16_e32 v14, v14, v33
	v_mul_f16_e64 v133, v31, v104
	v_mul_f16_e64 v205, v162, v112
	;; [unrolled: 1-line block ×6, first 2 shown]
	v_fmac_f16_e64 v131, v186, v2
	v_fma_f16 v35, v31, v3, -v200
	v_fmac_f16_e64 v155, v182, v10
	v_fmac_f16_e64 v145, v159, v3
	v_fmac_f16_e64 v143, v160, v9
	v_sub_f16_e64 v159, v193, v173
	v_sub_f16_e64 v160, v180, v156
	v_add_f16_e64 v24, v24, v130
	v_add_f16_e32 v14, v14, v34
	v_mul_f16_e64 v150, v20, v111
	v_mul_f16_e64 v142, v26, v108
	v_fmac_f16_e64 v133, v185, v3
	v_fma_f16 v36, v32, v8, -v201
	v_fma_f16 v32, v19, v5, -v205
	v_fmac_f16_e64 v151, v162, v5
	v_fma_f16 v31, v20, v6, -v206
	v_fmac_f16_e64 v147, v163, v7
	v_fmac_f16_e64 v149, v161, v1
	v_fma_f16 v20, v25, v9, -v213
	v_fma_f16 v19, v26, v10, -v214
	v_fmac_f16_e64 v152, v164, v4
	v_add_f16_e64 v25, v193, v173
	v_add_f16_e64 v26, v180, v156
	;; [unrolled: 1-line block ×4, first 2 shown]
	v_sub_f16_e64 v163, v37, v183
	v_sub_f16_e64 v164, v179, v155
	v_mul_f16_e64 v37, 0xb770, v160
	v_mul_f16_e64 v179, 0xb770, v159
	;; [unrolled: 1-line block ×11, first 2 shown]
	v_add_f16_e64 v24, v24, v131
	v_add_f16_e32 v14, v14, v35
	v_fmac_f16_e64 v150, v171, v6
	v_fmac_f16_e64 v148, v174, v0
	;; [unrolled: 1-line block ×4, first 2 shown]
	v_add_f16_e64 v165, v38, v184
	v_add_f16_e64 v171, v178, v154
	v_sub_f16_e64 v172, v38, v184
	v_sub_f16_e64 v174, v178, v154
	v_mul_f16_e64 v159, 0xb3a8, v159
	v_mul_f16_e64 v195, 0xba95, v164
	v_mul_f16_e64 v196, 0xba95, v163
	v_mul_f16_e64 v198, 0xbb7b, v163
	v_mul_f16_e64 v199, 0xb3a8, v164
	v_mul_f16_e64 v200, 0xb3a8, v163
	v_mul_f16_e64 v201, 0x394e, v164
	v_mul_f16_e64 v204, 0x3bf1, v163
	v_fma_f16 v38, v25, 0x3b15, -v37
	v_fma_f16 v178, 0x3b15, v26, v179
	v_fmac_f16_e32 v37, 0x3b15, v25
	v_fma_f16 v179, v26, 0x3b15, -v179
	v_fma_f16 v226, v25, 0x388b, -v185
	v_fma_f16 v227, 0x388b, v26, v186
	v_fmac_f16_e64 v185, 0x388b, v25
	v_fma_f16 v186, v26, 0x388b, -v186
	v_fma_f16 v228, v25, 0x2fb7, -v187
	v_fma_f16 v229, 0x2fb7, v26, v188
	v_fmac_f16_e64 v187, 0x2fb7, v25
	v_fma_f16 v188, v26, 0x2fb7, -v188
	v_fma_f16 v230, v25, 0xb5ac, -v191
	v_fma_f16 v231, 0xb5ac, v26, v192
	v_fmac_f16_e64 v191, 0xb5ac, v25
	v_fma_f16 v232, v25, 0xb9fd, -v193
	v_fma_f16 v233, 0xb9fd, v26, v194
	v_fmac_f16_e64 v193, 0xb9fd, v25
	v_fma_f16 v234, v25, 0xbbc4, -v160
	v_fmac_f16_e64 v160, 0xbbc4, v25
	v_add_f16_e64 v24, v24, v133
	v_add_f16_e32 v14, v14, v36
	v_mul_f16_e64 v215, v177, v107
	v_mul_f16_e64 v141, v175, v107
	v_sub_f16_e64 v180, v158, v153
	v_mul_f16_e64 v197, 0xbb7b, v164
	v_mul_f16_e64 v202, 0x394e, v163
	;; [unrolled: 1-line block ×9, first 2 shown]
	v_fma_f16 v192, v26, 0xb5ac, -v192
	v_fma_f16 v194, v26, 0xb9fd, -v194
	v_fma_f16 v235, 0xbbc4, v26, v159
	v_fma_f16 v25, v26, 0xbbc4, -v159
	v_fma_f16 v26, v161, 0x388b, -v195
	v_fma_f16 v159, 0x388b, v162, v196
	v_fma_f16 v196, v162, 0x388b, -v196
	v_fma_f16 v237, 0xb5ac, v162, v198
	v_fma_f16 v198, v162, 0xb5ac, -v198
	v_fma_f16 v238, v161, 0xbbc4, -v199
	v_fma_f16 v239, 0xbbc4, v162, v200
	v_fmac_f16_e64 v199, 0xbbc4, v161
	v_fma_f16 v200, v162, 0xbbc4, -v200
	v_fma_f16 v240, v161, 0xb9fd, -v201
	v_fma_f16 v243, 0x2fb7, v162, v204
	v_add_f16_e32 v38, v17, v38
	v_add_f16_e32 v37, v17, v37
	v_add_f16_e64 v226, v17, v226
	v_add_f16_e64 v185, v17, v185
	;; [unrolled: 1-line block ×20, first 2 shown]
	v_fma_f16 v18, v175, v11, -v215
	v_fmac_f16_e64 v141, v177, v11
	v_add_f16_e64 v175, v190, v36
	v_sub_f16_e64 v177, v190, v36
	v_sub_f16_e64 v182, v132, v133
	v_mul_f16_e64 v206, 0xbbf1, v172
	v_mul_f16_e64 v207, 0xb3a8, v174
	;; [unrolled: 1-line block ×9, first 2 shown]
	v_fmac_f16_e64 v195, 0x388b, v161
	v_fma_f16 v236, v161, 0xb5ac, -v197
	v_fmac_f16_e64 v197, 0xb5ac, v161
	v_fma_f16 v241, 0xb9fd, v162, v202
	v_fmac_f16_e64 v201, 0xb9fd, v161
	v_fma_f16 v202, v162, 0xb9fd, -v202
	v_fma_f16 v242, v161, 0x2fb7, -v203
	v_fmac_f16_e64 v203, 0x2fb7, v161
	v_fma_f16 v204, v162, 0x2fb7, -v204
	v_fma_f16 v244, v161, 0x3b15, -v164
	v_fma_f16 v245, 0x3b15, v162, v163
	v_fmac_f16_e64 v164, 0x3b15, v161
	v_fma_f16 v161, v162, 0x3b15, -v163
	v_fma_f16 v162, v165, 0x2fb7, -v205
	;; [unrolled: 1-line block ×3, first 2 shown]
	v_fma_f16 v250, 0xbbc4, v171, v208
	v_fma_f16 v208, v171, 0xbbc4, -v208
	v_fma_f16 v253, 0x388b, v171, v214
	v_add_f16_e64 v192, v157, v192
	v_add_f16_e64 v194, v157, v194
	;; [unrolled: 1-line block ×4, first 2 shown]
	v_add_f16_e32 v26, v26, v38
	v_add_f16_e64 v157, v196, v178
	v_add_f16_e64 v178, v198, v186
	v_add_f16_e64 v186, v199, v187
	v_add_f16_e64 v187, v200, v188
	v_add_f16_e64 v188, v240, v230
	v_add_f16_e64 v196, v243, v231
	v_add_f16_e64 v24, v24, v154
	v_add_f16_e64 v14, v14, v183
	v_fmac_f16_e64 v142, v176, v10
	v_add_f16_e64 v176, v158, v153
	v_add_f16_e64 v181, v189, v35
	v_mul_f16_e64 v216, 0xbb7b, v177
	v_mul_f16_e64 v218, 0x394e, v177
	;; [unrolled: 1-line block ×7, first 2 shown]
	v_fmac_f16_e64 v205, 0x2fb7, v165
	v_fma_f16 v163, v165, 0xbbc4, -v207
	v_fmac_f16_e64 v207, 0xbbc4, v165
	v_fma_f16 v246, v165, 0xb5ac, -v209
	v_fmac_f16_e64 v209, 0xb5ac, v165
	v_fmac_f16_e64 v211, 0x3b15, v165
	v_fma_f16 v248, v165, 0x388b, -v212
	v_fmac_f16_e64 v212, 0x388b, v165
	v_fma_f16 v249, v165, 0xb9fd, -v174
	v_fmac_f16_e64 v174, 0xb9fd, v165
	v_fma_f16 v165, 0x2fb7, v171, v206
	v_fma_f16 v206, v171, 0x2fb7, -v206
	v_fma_f16 v251, 0xb5ac, v171, v210
	v_fma_f16 v210, v171, 0xb5ac, -v210
	;; [unrolled: 2-line block ×3, first 2 shown]
	v_fma_f16 v214, v171, 0x388b, -v214
	v_fma_f16 v254, 0xb9fd, v171, v172
	v_fma_f16 v171, v171, 0xb9fd, -v172
	v_fma_f16 v172, v175, 0xb5ac, -v215
	v_add_f16_e64 v38, v159, v160
	v_add_f16_e64 v160, v197, v185
	;; [unrolled: 1-line block ×11, first 2 shown]
	v_sub_f16_e64 v14, v189, v35
	v_fma_f16 v255, 0xb5ac, v176, v216
	v_fma_f16 v216, v176, 0xb5ac, -v216
	v_add_f16_e64 v159, v237, v179
	v_add_f16_e64 v17, v164, v17
	;; [unrolled: 1-line block ×10, first 2 shown]
	v_fma_f16 v24, v176, 0x388b, -v177
	v_fma_f16 v35, v181, 0xb9fd, -v225
	v_add_f16_e64 v132, v132, v133
	v_mul_f16_e64 v133, 0xb94e, v14
	v_mul_f16_e64 v217, 0x394e, v180
	;; [unrolled: 1-line block ×3, first 2 shown]
	v_fma_f16 v55, 0xb9fd, v176, v218
	v_add_f16_e64 v158, v236, v226
	v_add_f16_e64 v179, v238, v228
	;; [unrolled: 1-line block ×5, first 2 shown]
	v_add_f16_e32 v24, v24, v25
	v_add_f16_e32 v25, v35, v26
	v_fma_f16 v35, 0xb9fd, v132, v133
	v_fma_f16 v133, v132, 0xb9fd, -v133
	v_mul_f16_e64 v156, 0x3bf1, v14
	v_fma_f16 v53, v175, 0xb9fd, -v217
	v_fmac_f16_e64 v217, 0xb9fd, v175
	v_fma_f16 v218, v176, 0xb9fd, -v218
	v_fma_f16 v57, v175, 0x3b15, -v219
	v_add_f16_e64 v185, v239, v227
	v_add_f16_e64 v158, v163, v158
	;; [unrolled: 1-line block ×5, first 2 shown]
	v_mul_f16_e64 v26, 0x3bf1, v182
	v_add_f16_e32 v35, v35, v38
	v_add_f16_e64 v38, v133, v157
	v_fma_f16 v133, 0x2fb7, v132, v156
	v_mul_f16_e64 v221, 0xbbf1, v180
	v_fma_f16 v60, 0x3b15, v176, v220
	v_add_f16_e64 v163, v251, v185
	v_add_f16_e64 v53, v53, v158
	;; [unrolled: 1-line block ×5, first 2 shown]
	v_fma_f16 v162, v181, 0x2fb7, -v26
	v_mul_f16_e64 v157, 0xba95, v182
	v_fmac_f16_e64 v26, 0x2fb7, v181
	v_fma_f16 v156, v132, 0x2fb7, -v156
	v_add_f16_e64 v55, v133, v55
	v_mul_f16_e64 v133, 0xba95, v14
	v_fmac_f16_e64 v219, 0x3b15, v175
	v_fma_f16 v220, v176, 0x3b15, -v220
	v_fma_f16 v61, v175, 0x2fb7, -v221
	v_add_f16_e64 v190, v241, v229
	v_add_f16_e64 v191, v201, v191
	v_add_f16_e64 v165, v210, v187
	v_add_f16_e64 v60, v60, v163
	v_add_f16_e64 v53, v162, v53
	v_fma_f16 v162, v181, 0x388b, -v157
	v_add_f16_e64 v26, v26, v158
	v_add_f16_e64 v156, v156, v159
	v_mul_f16_e64 v158, 0x33a8, v182
	v_fma_f16 v159, 0x388b, v132, v133
	v_mul_f16_e64 v223, 0x33a8, v180
	v_fma_f16 v64, 0x2fb7, v176, v222
	v_fmac_f16_e64 v221, 0x2fb7, v175
	v_fma_f16 v222, v176, 0x2fb7, -v222
	v_add_f16_e64 v193, v203, v193
	v_add_f16_e64 v179, v252, v190
	;; [unrolled: 1-line block ×7, first 2 shown]
	v_fmac_f16_e64 v157, 0x388b, v181
	v_fma_f16 v133, v132, 0x388b, -v133
	v_fma_f16 v162, v181, 0xbbc4, -v158
	v_add_f16_e64 v60, v159, v60
	v_mul_f16_e64 v159, 0x33a8, v14
	v_mul_f16_e64 v180, 0x3a95, v180
	v_fma_f16 v65, v175, 0xbbc4, -v223
	v_fma_f16 v68, 0xbbc4, v176, v224
	v_fmac_f16_e64 v223, 0xbbc4, v175
	v_add_f16_e64 v194, v204, v194
	v_add_f16_e64 v190, v212, v193
	;; [unrolled: 1-line block ×8, first 2 shown]
	v_mul_f16_e64 v160, 0x3770, v182
	v_fma_f16 v161, 0xbbc4, v132, v159
	v_fmac_f16_e64 v158, 0xbbc4, v181
	v_mul_f16_e64 v162, 0x3770, v14
	v_fma_f16 v159, v132, 0xbbc4, -v159
	v_fma_f16 v224, v176, 0xbbc4, -v224
	v_fma_f16 v69, v175, 0x388b, -v180
	v_add_f16_e64 v191, v214, v194
	v_add_f16_e64 v68, v68, v188
	v_add_f16_e64 v154, v223, v190
	v_fma_f16 v163, v181, 0x3b15, -v160
	v_add_f16_e64 v64, v158, v64
	v_fma_f16 v158, 0x3b15, v132, v162
	v_add_f16_e64 v153, v159, v153
	v_mul_f16_e64 v159, 0xbb7b, v182
	v_fmac_f16_e64 v160, 0x3b15, v181
	v_add_f16_e64 v155, v224, v191
	v_add_f16_e64 v69, v69, v192
	v_add_f16_e64 v36, v161, v36
	v_add_f16_e64 v68, v158, v68
	v_fma_f16 v158, v132, 0x3b15, -v162
	v_fma_f16 v161, v181, 0xb5ac, -v159
	v_add_f16_e64 v154, v160, v154
	v_sub_f16_e64 v160, v130, v131
	v_mul_f16_e32 v14, 0xbb7b, v14
	v_add_f16_e64 v155, v158, v155
	v_add_f16_e64 v69, v161, v69
	;; [unrolled: 1-line block ×3, first 2 shown]
	v_mul_f16_e64 v158, 0xb3a8, v160
	v_sub_f16_e32 v33, v33, v34
	v_add_f16_e64 v198, v245, v233
	v_add_f16_e64 v17, v174, v17
	v_fmac_f16_e64 v180, 0x388b, v175
	v_fma_f16 v162, 0xb5ac, v132, v14
	v_fma_f16 v14, v132, 0xb5ac, -v14
	v_fma_f16 v34, v161, 0xbbc4, -v158
	v_add_f16_e64 v130, v130, v131
	v_mul_f16_e64 v131, 0xb3a8, v33
	v_add_f16_e64 v193, v254, v198
	v_add_f16_e64 v17, v180, v17
	v_fmac_f16_e64 v159, 0xb5ac, v181
	v_add_f16_e32 v14, v14, v24
	v_add_f16_e64 v198, v34, v25
	v_fma_f16 v24, 0xbbc4, v130, v131
	v_mul_f16_e32 v34, 0x3770, v33
	v_add_f16_e64 v132, v159, v17
	v_mul_f16_e64 v17, 0x3770, v160
	v_fma_f16 v25, v130, 0xbbc4, -v131
	v_add_f16_e64 v199, v24, v35
	v_fma_f16 v24, 0x3b15, v130, v34
	v_fma_f16 v34, v130, 0x3b15, -v34
	v_fma_f16 v131, v161, 0x3b15, -v17
	v_fmac_f16_e64 v17, 0x3b15, v161
	v_add_f16_e64 v201, v25, v38
	v_add_f16_e32 v55, v24, v55
	v_mul_f16_e32 v24, 0xb94e, v33
	v_mul_f16_e64 v25, 0xb94e, v160
	v_add_f16_e64 v202, v17, v26
	v_mul_f16_e64 v17, 0x3a95, v160
	v_add_f16_e64 v37, v195, v37
	v_fma_f16 v26, 0xb9fd, v130, v24
	v_fma_f16 v35, v161, 0xb9fd, -v25
	v_add_f16_e64 v203, v34, v156
	v_fmac_f16_e64 v25, 0xb9fd, v161
	v_fma_f16 v34, v161, 0x388b, -v17
	v_add_f16_e32 v60, v26, v60
	v_mul_f16_e32 v26, 0x3a95, v33
	v_fmac_f16_e64 v215, 0xb5ac, v175
	v_add_f16_e64 v37, v205, v37
	v_fma_f16 v24, v130, 0xb9fd, -v24
	v_add_f16_e64 v204, v25, v157
	v_add_f16_e32 v61, v34, v61
	v_fma_f16 v25, 0x388b, v130, v26
	v_mul_f16_e32 v34, 0xbb7b, v33
	v_fma_f16 v70, 0x388b, v176, v177
	v_add_f16_e64 v195, v242, v232
	v_add_f16_e64 v37, v215, v37
	v_fmac_f16_e64 v225, 0xb9fd, v181
	v_add_f16_e64 v205, v24, v133
	v_mul_f16_e64 v24, 0xbb7b, v160
	v_fmac_f16_e64 v17, 0x388b, v161
	v_fma_f16 v26, v130, 0x388b, -v26
	v_add_f16_e64 v206, v25, v36
	v_fma_f16 v25, 0xb5ac, v130, v34
	v_add_f16_e64 v187, v248, v195
	v_add_f16_e64 v70, v70, v193
	;; [unrolled: 1-line block ×3, first 2 shown]
	v_fmac_f16_e64 v158, 0xbbc4, v161
	v_add_f16_e32 v57, v35, v57
	v_fma_f16 v35, v161, 0xb5ac, -v24
	v_add_f16_e32 v64, v17, v64
	v_add_f16_e64 v207, v26, v153
	v_fmac_f16_e64 v24, 0xb5ac, v161
	v_add_f16_e32 v68, v25, v68
	v_mul_f16_e64 v25, 0x3bf1, v160
	v_fma_f16 v17, v130, 0xb5ac, -v34
	v_mul_f16_e32 v26, 0x3bf1, v33
	v_sub_f16_e64 v194, v152, v141
	v_add_f16_e64 v65, v65, v187
	v_add_f16_e64 v70, v162, v70
	;; [unrolled: 1-line block ×4, first 2 shown]
	v_fma_f16 v24, v161, 0x2fb7, -v25
	v_add_f16_e64 v209, v17, v155
	v_fma_f16 v17, 0x2fb7, v130, v26
	v_add_f16_e64 v193, v23, v18
	v_mul_f16_e64 v192, 0xb770, v194
	v_sub_f16_e64 v158, v23, v18
	v_add_f16_e64 v65, v163, v65
	v_add_f16_e32 v69, v24, v69
	v_fmac_f16_e64 v25, 0x2fb7, v161
	v_add_f16_e32 v70, v17, v70
	v_fma_f16 v33, 0x3b15, v193, v192
	v_add_f16_e64 v17, v152, v141
	v_mul_f16_e64 v24, 0xb770, v158
	v_sub_f16_e64 v185, v151, v142
	v_sub_f16_e64 v174, v32, v19
	v_add_f16_e32 v65, v35, v65
	v_add_f16_e64 v210, v25, v132
	v_fma_f16 v130, v130, 0x2fb7, -v26
	v_add_f16_e32 v35, v13, v33
	v_fma_f16 v36, v17, 0x3b15, -v24
	v_mul_f16_e64 v195, 0xba95, v194
	v_mul_f16_e64 v157, 0xba95, v158
	v_add_f16_e32 v25, v32, v19
	v_mul_f16_e64 v26, 0xba95, v185
	v_add_f16_e64 v33, v151, v142
	v_mul_f16_e64 v34, 0xba95, v174
	v_add_f16_e64 v53, v131, v53
	v_fma_f16 v37, 0x388b, v193, v195
	v_fma_f16 v38, v17, 0x388b, -v157
	v_fma_f16 v131, 0x388b, v25, v26
	v_add_f16_e64 v132, v140, v36
	v_fma_f16 v154, v33, 0x388b, -v34
	v_mul_f16_e64 v159, 0xbb7b, v185
	v_sub_f16_e64 v188, v150, v143
	v_sub_f16_e64 v177, v31, v20
	v_mul_f16_e64 v171, 0xbb7b, v174
	v_add_f16_e64 v133, v13, v37
	v_add_f16_e64 v153, v140, v38
	;; [unrolled: 1-line block ×3, first 2 shown]
	v_add_f16_e32 v35, v31, v20
	v_add_f16_e64 v37, v150, v143
	v_mul_f16_e64 v36, 0xbbf1, v188
	v_mul_f16_e64 v38, 0xbbf1, v177
	v_add_f16_e64 v132, v154, v132
	v_fma_f16 v154, 0xb5ac, v25, v159
	v_fma_f16 v155, v33, 0xb5ac, -v171
	v_sub_f16_e64 v189, v147, v144
	v_mul_f16_e64 v175, 0xb3a8, v188
	v_fma_f16 v156, 0x2fb7, v35, v36
	v_fma_f16 v160, v37, 0x2fb7, -v38
	v_add_f16_e64 v211, v130, v14
	v_add_f16_e64 v14, v154, v133
	;; [unrolled: 1-line block ×3, first 2 shown]
	v_sub_f16_e64 v181, v30, v21
	v_mul_f16_e64 v178, 0xb3a8, v177
	v_add_f16_e64 v153, v30, v21
	v_mul_f16_e64 v154, 0xbb7b, v189
	v_fma_f16 v133, 0xbbc4, v35, v175
	v_mul_f16_e64 v176, 0x394e, v189
	v_add_f16_e64 v131, v156, v131
	v_add_f16_e64 v132, v160, v132
	;; [unrolled: 1-line block ×3, first 2 shown]
	v_mul_f16_e64 v156, 0xbb7b, v181
	v_fma_f16 v160, v37, 0xbbc4, -v178
	v_fma_f16 v161, 0xb5ac, v153, v154
	v_add_f16_e64 v14, v133, v14
	v_fma_f16 v133, 0xb9fd, v153, v176
	v_sub_f16_e64 v190, v148, v145
	v_mul_f16_e64 v180, 0x394e, v181
	v_sub_f16_e64 v184, v29, v22
	v_fma_f16 v162, v155, 0xb5ac, -v156
	v_add_f16_e64 v130, v160, v130
	v_add_f16_e64 v131, v161, v131
	;; [unrolled: 1-line block ×4, first 2 shown]
	v_mul_f16_e64 v161, 0xb94e, v190
	v_add_f16_e64 v164, v148, v145
	v_mul_f16_e64 v165, 0xb94e, v184
	v_fma_f16 v133, v155, 0xb9fd, -v180
	v_mul_f16_e64 v182, 0x3bf1, v184
	v_add_f16_e64 v132, v162, v132
	v_mul_f16_e64 v179, 0x3bf1, v190
	v_fma_f16 v162, 0xb9fd, v160, v161
	v_fma_f16 v163, v164, 0xb9fd, -v165
	v_add_f16_e64 v130, v133, v130
	v_fma_f16 v133, v164, 0x2fb7, -v182
	v_sub_f16_e64 v191, v149, v146
	v_fma_f16 v172, 0x2fb7, v160, v179
	v_add_f16_e64 v131, v162, v131
	v_add_f16_e64 v132, v163, v132
	v_sub_f16_e64 v187, v28, v27
	v_add_f16_e64 v133, v133, v130
	v_add_f16_e64 v162, v28, v27
	v_mul_f16_e64 v163, 0xb3a8, v191
	v_lshrrev_b32_e32 v130, 2, v87
	v_add_f16_e64 v14, v172, v14
	v_add_f16_e64 v172, v149, v146
	v_mul_f16_e64 v186, 0x3770, v187
	v_fma_f16 v212, 0xbbc4, v162, v163
	v_mul_u32_u24_e32 v214, 52, v130
	v_mul_f16_e64 v173, 0xb3a8, v187
	v_mul_f16_e64 v183, 0x3770, v191
	v_fma_f16 v216, v172, 0x3b15, -v186
	v_add_f16_e64 v130, v212, v131
	v_or_b32_e32 v212, v214, v100
	v_fma_f16 v213, v172, 0xbbc4, -v173
	v_fma_f16 v215, 0x3b15, v162, v183
	v_add_f16_e64 v131, v216, v133
	v_pack_b32_f16 v196, v196, v197
	v_lshlrev_b32_e32 v133, 2, v212
	v_pack_b32_f16 v197, v198, v199
	v_pack_b32_f16 v53, v53, v55
	;; [unrolled: 1-line block ×5, first 2 shown]
	v_add_f16_e64 v132, v213, v132
	v_add_f16_e64 v14, v215, v14
	ds_store_2addr_b32 v133, v196, v197 offset1:4
	ds_store_2addr_b32 v133, v53, v55 offset0:8 offset1:12
	ds_store_2addr_b32 v133, v57, v60 offset0:16 offset1:20
	v_pack_b32_f16 v53, v69, v70
	v_pack_b32_f16 v55, v210, v211
	;; [unrolled: 1-line block ×7, first 2 shown]
	ds_store_2addr_b32 v133, v53, v55 offset0:24 offset1:28
	ds_store_2addr_b32 v133, v57, v60 offset0:32 offset1:36
	;; [unrolled: 1-line block ×3, first 2 shown]
	ds_store_b32 v133, v65 offset:192
	s_and_saveexec_b32 s0, vcc_lo
	s_cbranch_execz .LBB0_5
; %bb.4:
	v_mul_f16_e64 v53, 0x388b, v193
	v_mul_f16_e64 v55, 0xb3a8, v194
	;; [unrolled: 1-line block ×6, first 2 shown]
	v_sub_f16_e64 v53, v53, v195
	v_fma_f16 v64, 0xbbc4, v193, v55
	v_fma_f16 v55, v193, 0xbbc4, -v55
	v_fma_f16 v65, 0xb9fd, v193, v57
	v_fma_f16 v57, v193, 0xb9fd, -v57
	;; [unrolled: 2-line block ×4, first 2 shown]
	v_sub_f16_e64 v70, v70, v192
	v_add_f16_e32 v68, v13, v68
	v_add_f16_e32 v65, v13, v65
	v_add_f16_e32 v69, v13, v69
	v_add_f16_e32 v64, v13, v64
	v_add_f16_e32 v55, v13, v55
	v_add_f16_e32 v57, v13, v57
	v_add_f16_e32 v61, v13, v61
	v_add_f16_e32 v60, v13, v60
	v_add_f16_e32 v53, v13, v53
	v_add_f16_e32 v23, v13, v23
	v_add_f16_e32 v13, v13, v70
	v_mul_f16_e32 v70, 0x2fb7, v17
	v_mul_f16_e64 v193, 0xbbc4, v33
	v_mul_f16_e64 v204, 0xb9fd, v33
	;; [unrolled: 1-line block ×4, first 2 shown]
	v_fma_f16 v192, 0x3bf1, v158, v70
	v_fma_f16 v194, 0x33a8, v174, v193
	;; [unrolled: 1-line block ×5, first 2 shown]
	v_add_f16_e64 v192, v140, v192
	v_fmac_f16_e64 v228, 0x3770, v174
	v_fmac_f16_e64 v216, 0x3bf1, v174
	;; [unrolled: 1-line block ×4, first 2 shown]
	v_add_f16_e64 v192, v194, v192
	v_mul_f16_e64 v194, 0xb5ac, v37
	v_add_f16_e32 v23, v23, v32
	v_fmac_f16_e64 v70, 0xbbf1, v158
	s_delay_alu instid0(VALU_DEP_3) | instskip(NEXT) | instid1(VALU_DEP_3)
	v_fma_f16 v195, 0xbb7b, v177, v194
	v_add_f16_e32 v23, v23, v31
	s_delay_alu instid0(VALU_DEP_3) | instskip(SKIP_1) | instid1(VALU_DEP_4)
	v_add_f16_e64 v70, v140, v70
	v_fmac_f16_e64 v194, 0x3b7b, v177
	v_add_f16_e64 v192, v195, v192
	v_mul_f16_e64 v195, 0x3b15, v155
	v_add_f16_e32 v23, v23, v30
	v_add_f16_e64 v70, v193, v70
	s_delay_alu instid0(VALU_DEP_3) | instskip(NEXT) | instid1(VALU_DEP_3)
	v_fma_f16 v196, 0xb770, v181, v195
	v_add_f16_e32 v23, v23, v29
	v_mul_f16_e32 v29, 0x388b, v33
	s_delay_alu instid0(VALU_DEP_4)
	v_add_f16_e64 v70, v194, v70
	v_fmac_f16_e64 v195, 0x3770, v181
	v_add_f16_e64 v192, v196, v192
	v_mul_f16_e64 v196, 0xb3a8, v185
	v_add_f16_e32 v23, v23, v28
	v_add_f16_e32 v29, v34, v29
	v_mul_f16_e32 v28, 0x2fb7, v37
	v_add_f16_e64 v70, v195, v70
	v_fma_f16 v197, 0xbbc4, v25, v196
	v_add_f16_e32 v23, v23, v27
	v_mul_f16_e64 v27, 0xb5ac, v155
	v_add_f16_e32 v28, v38, v28
	s_delay_alu instid0(VALU_DEP_4) | instskip(SKIP_3) | instid1(VALU_DEP_3)
	v_add_f16_e64 v69, v197, v69
	v_mul_f16_e64 v197, 0x388b, v164
	v_add_f16_e32 v22, v23, v22
	v_add_f16_e64 v27, v156, v27
	v_fma_f16 v198, 0x3a95, v184, v197
	s_delay_alu instid0(VALU_DEP_3) | instskip(SKIP_2) | instid1(VALU_DEP_4)
	v_add_f16_e32 v21, v22, v21
	v_mul_f16_e64 v22, 0xb9fd, v164
	v_fmac_f16_e64 v197, 0xba95, v184
	v_add_f16_e64 v192, v198, v192
	v_mul_f16_e64 v198, 0x3b7b, v188
	s_delay_alu instid0(VALU_DEP_4) | instskip(SKIP_2) | instid1(VALU_DEP_4)
	v_add_f16_e64 v22, v165, v22
	v_add_f16_e32 v20, v21, v20
	v_add_f16_e64 v70, v197, v70
	v_fma_f16 v199, 0xb5ac, v35, v198
	s_delay_alu instid0(VALU_DEP_3) | instskip(NEXT) | instid1(VALU_DEP_2)
	v_add_f16_e32 v19, v20, v19
	v_add_f16_e64 v69, v199, v69
	v_mul_f16_e64 v199, 0xb9fd, v172
	s_delay_alu instid0(VALU_DEP_3) | instskip(NEXT) | instid1(VALU_DEP_2)
	v_add_f16_e32 v18, v19, v18
	v_fma_f16 v200, 0x394e, v187, v199
	v_fmac_f16_e64 v199, 0xb94e, v187
	s_delay_alu instid0(VALU_DEP_2) | instskip(SKIP_1) | instid1(VALU_DEP_3)
	v_add_f16_e64 v192, v200, v192
	v_mul_f16_e64 v200, 0x3770, v189
	v_add_f16_e64 v70, v199, v70
	s_delay_alu instid0(VALU_DEP_2) | instskip(NEXT) | instid1(VALU_DEP_1)
	v_fma_f16 v201, 0x3b15, v153, v200
	v_add_f16_e64 v69, v201, v69
	v_mul_f16_e64 v201, 0xba95, v190
	s_delay_alu instid0(VALU_DEP_1) | instskip(NEXT) | instid1(VALU_DEP_1)
	v_fma_f16 v202, 0x388b, v160, v201
	v_add_f16_e64 v69, v202, v69
	v_mul_f16_e64 v202, 0xb5ac, v17
	s_delay_alu instid0(VALU_DEP_1) | instskip(SKIP_1) | instid1(VALU_DEP_2)
	v_fma_f16 v203, 0x3b7b, v158, v202
	v_fmac_f16_e64 v202, 0xbb7b, v158
	v_add_f16_e64 v203, v140, v203
	s_delay_alu instid0(VALU_DEP_1) | instskip(SKIP_1) | instid1(VALU_DEP_1)
	v_add_f16_e64 v203, v205, v203
	v_mul_f16_e64 v205, 0xb94e, v191
	v_fma_f16 v206, 0xb9fd, v162, v205
	s_delay_alu instid0(VALU_DEP_1) | instskip(SKIP_1) | instid1(VALU_DEP_1)
	v_add_f16_e64 v69, v206, v69
	v_mul_f16_e64 v206, 0x3b15, v37
	v_fma_f16 v207, 0xb770, v177, v206
	v_fmac_f16_e64 v206, 0x3770, v177
	s_delay_alu instid0(VALU_DEP_2) | instskip(SKIP_1) | instid1(VALU_DEP_1)
	v_add_f16_e64 v203, v207, v203
	v_mul_f16_e64 v207, 0x2fb7, v155
	v_fma_f16 v208, 0x3bf1, v181, v207
	v_fmac_f16_e64 v207, 0xbbf1, v181
	s_delay_alu instid0(VALU_DEP_2) | instskip(SKIP_1) | instid1(VALU_DEP_1)
	v_add_f16_e64 v203, v208, v203
	v_mul_f16_e64 v208, 0x394e, v185
	v_fma_f16 v209, 0xb9fd, v25, v208
	v_fma_f16 v174, v25, 0xb9fd, -v208
	s_delay_alu instid0(VALU_DEP_2) | instskip(SKIP_1) | instid1(VALU_DEP_3)
	v_add_f16_e64 v68, v209, v68
	v_mul_f16_e64 v209, 0xbbc4, v164
	v_add_f16_e64 v61, v174, v61
	s_delay_alu instid0(VALU_DEP_2) | instskip(SKIP_1) | instid1(VALU_DEP_2)
	v_fma_f16 v210, 0xb3a8, v184, v209
	v_fmac_f16_e64 v209, 0x33a8, v184
	v_add_f16_e64 v203, v210, v203
	v_mul_f16_e64 v210, 0x3770, v188
	s_delay_alu instid0(VALU_DEP_1) | instskip(SKIP_1) | instid1(VALU_DEP_2)
	v_fma_f16 v211, 0x3b15, v35, v210
	v_fma_f16 v174, v35, 0x3b15, -v210
	v_add_f16_e64 v68, v211, v68
	v_mul_f16_e64 v211, 0x388b, v172
	s_delay_alu instid0(VALU_DEP_3) | instskip(NEXT) | instid1(VALU_DEP_2)
	v_add_f16_e64 v61, v174, v61
	v_fma_f16 v212, 0xba95, v187, v211
	v_fmac_f16_e64 v211, 0x3a95, v187
	s_delay_alu instid0(VALU_DEP_2) | instskip(SKIP_1) | instid1(VALU_DEP_1)
	v_add_f16_e64 v203, v212, v203
	v_mul_f16_e64 v212, 0xbbf1, v189
	v_fma_f16 v213, 0x2fb7, v153, v212
	v_fma_f16 v174, v153, 0x2fb7, -v212
	s_delay_alu instid0(VALU_DEP_2) | instskip(SKIP_1) | instid1(VALU_DEP_3)
	v_add_f16_e64 v68, v213, v68
	v_mul_f16_e64 v213, 0x33a8, v190
	v_add_f16_e64 v61, v174, v61
	s_delay_alu instid0(VALU_DEP_2) | instskip(SKIP_1) | instid1(VALU_DEP_2)
	v_fma_f16 v214, 0xbbc4, v160, v213
	v_fma_f16 v174, v160, 0xbbc4, -v213
	v_add_f16_e64 v68, v214, v68
	v_mul_f16_e64 v214, 0xb9fd, v17
	s_delay_alu instid0(VALU_DEP_3) | instskip(SKIP_1) | instid1(VALU_DEP_3)
	v_add_f16_e64 v61, v174, v61
	v_mul_f16_e64 v174, 0x388b, v17
	v_fma_f16 v215, 0x394e, v158, v214
	v_fmac_f16_e64 v214, 0xb94e, v158
	s_delay_alu instid0(VALU_DEP_3) | instskip(SKIP_1) | instid1(VALU_DEP_4)
	v_add_f16_e64 v157, v157, v174
	v_fma_f16 v174, v25, 0xbbc4, -v196
	v_add_f16_e64 v215, v140, v215
	s_delay_alu instid0(VALU_DEP_4) | instskip(NEXT) | instid1(VALU_DEP_4)
	v_add_f16_e64 v214, v140, v214
	v_add_f16_e64 v157, v140, v157
	s_delay_alu instid0(VALU_DEP_4) | instskip(SKIP_4) | instid1(VALU_DEP_4)
	v_add_f16_e64 v60, v174, v60
	v_mul_f16_e64 v174, 0xb5ac, v33
	v_add_f16_e64 v215, v217, v215
	v_mul_f16_e64 v217, 0x3a95, v191
	v_add_f16_e64 v214, v216, v214
	v_add_f16_e64 v171, v171, v174
	v_fma_f16 v174, v35, 0xb5ac, -v198
	s_delay_alu instid0(VALU_DEP_4) | instskip(NEXT) | instid1(VALU_DEP_3)
	v_fma_f16 v218, 0x388b, v162, v217
	v_add_f16_e64 v157, v171, v157
	s_delay_alu instid0(VALU_DEP_3) | instskip(NEXT) | instid1(VALU_DEP_3)
	v_add_f16_e64 v60, v174, v60
	v_add_f16_e64 v68, v218, v68
	v_mul_f16_e64 v218, 0x388b, v37
	v_mul_f16_e64 v174, 0xb5ac, v25
	;; [unrolled: 1-line block ×3, first 2 shown]
	s_delay_alu instid0(VALU_DEP_3) | instskip(NEXT) | instid1(VALU_DEP_3)
	v_fma_f16 v219, 0x3a95, v177, v218
	v_sub_f16_e64 v159, v174, v159
	s_delay_alu instid0(VALU_DEP_3)
	v_add_f16_e64 v171, v178, v171
	v_fmac_f16_e64 v218, 0xba95, v177
	v_fma_f16 v174, v153, 0x3b15, -v200
	v_add_f16_e64 v215, v219, v215
	v_mul_f16_e64 v219, 0xbbc4, v155
	v_add_f16_e64 v53, v159, v53
	v_mul_f16_e64 v159, 0xbbc4, v35
	;; [unrolled: 2-line block ×3, first 2 shown]
	v_fma_f16 v220, 0xb3a8, v181, v219
	v_fmac_f16_e64 v219, 0x33a8, v181
	v_sub_f16_e64 v159, v159, v175
	v_add_f16_e64 v60, v174, v60
	v_add_f16_e64 v171, v180, v171
	;; [unrolled: 1-line block ×3, first 2 shown]
	v_mul_f16_e64 v220, 0x3bf1, v185
	v_mul_f16_e64 v185, 0x3770, v185
	v_add_f16_e64 v53, v159, v53
	v_mul_f16_e64 v159, 0xb9fd, v153
	v_add_f16_e64 v157, v171, v157
	v_fma_f16 v221, 0x2fb7, v25, v220
	v_mul_f16_e64 v171, 0x2fb7, v164
	s_delay_alu instid0(VALU_DEP_4) | instskip(NEXT) | instid1(VALU_DEP_3)
	v_sub_f16_e64 v159, v159, v176
	v_add_f16_e64 v65, v221, v65
	v_mul_f16_e64 v221, 0x3b15, v164
	s_delay_alu instid0(VALU_DEP_4) | instskip(NEXT) | instid1(VALU_DEP_4)
	v_add_f16_e64 v171, v182, v171
	v_add_f16_e64 v32, v159, v53
	;; [unrolled: 1-line block ×3, first 2 shown]
	v_fma_f16 v152, v160, 0x388b, -v201
	v_fma_f16 v222, 0xb770, v184, v221
	v_add_f16_e64 v157, v171, v157
	v_mul_f16_e64 v171, 0x3b15, v172
	v_add_f16_e64 v53, v53, v151
	v_mul_f16_e64 v151, 0x2fb7, v160
	;; [unrolled: 2-line block ×3, first 2 shown]
	v_mul_f16_e64 v188, 0xb94e, v188
	v_add_f16_e64 v53, v53, v150
	v_sub_f16_e64 v151, v151, v179
	v_fmac_f16_e64 v221, 0x3770, v184
	v_fma_f16 v223, 0x388b, v35, v222
	v_add_f16_e64 v171, v186, v171
	v_add_f16_e64 v30, v53, v147
	;; [unrolled: 1-line block ×5, first 2 shown]
	v_mul_f16_e64 v223, 0xb5ac, v172
	v_add_f16_e64 v30, v30, v148
	v_add_f16_e64 v31, v171, v157
	s_delay_alu instid0(VALU_DEP_3) | instskip(SKIP_1) | instid1(VALU_DEP_2)
	v_fma_f16 v224, 0x3b7b, v187, v223
	v_fmac_f16_e64 v223, 0xbb7b, v187
	v_add_f16_e64 v215, v224, v215
	v_mul_f16_e64 v224, 0x33a8, v189
	v_mul_f16_e64 v189, 0x3a95, v189
	s_delay_alu instid0(VALU_DEP_2) | instskip(NEXT) | instid1(VALU_DEP_1)
	v_fma_f16 v225, 0xbbc4, v153, v224
	v_add_f16_e64 v65, v225, v65
	v_mul_f16_e64 v225, 0x3770, v190
	v_mul_f16_e64 v190, 0xbb7b, v190
	s_delay_alu instid0(VALU_DEP_2) | instskip(NEXT) | instid1(VALU_DEP_1)
	v_fma_f16 v226, 0x3b15, v160, v225
	v_add_f16_e64 v65, v226, v65
	v_mul_f16_e64 v226, 0xbbc4, v17
	v_mul_f16_e32 v17, 0x3b15, v17
	s_delay_alu instid0(VALU_DEP_2) | instskip(SKIP_1) | instid1(VALU_DEP_3)
	v_fma_f16 v227, 0x33a8, v158, v226
	v_fmac_f16_e64 v226, 0xb3a8, v158
	v_add_f16_e32 v17, v24, v17
	v_mul_f16_e64 v24, 0x3b15, v162
	s_delay_alu instid0(VALU_DEP_4) | instskip(NEXT) | instid1(VALU_DEP_4)
	v_add_f16_e64 v227, v140, v227
	v_add_f16_e64 v226, v140, v226
	s_delay_alu instid0(VALU_DEP_4) | instskip(NEXT) | instid1(VALU_DEP_4)
	v_add_f16_e64 v17, v140, v17
	v_sub_f16_e64 v24, v24, v183
	s_delay_alu instid0(VALU_DEP_4)
	v_add_f16_e64 v227, v229, v227
	v_mul_f16_e64 v229, 0xbb7b, v191
	v_add_f16_e64 v226, v228, v226
	v_fma_f16 v228, 0x388b, v153, v189
	v_fma_f16 v189, v153, 0x388b, -v189
	v_add_f16_e32 v17, v29, v17
	v_fma_f16 v230, 0xb5ac, v162, v229
	v_mul_f16_e64 v191, 0x3bf1, v191
	s_delay_alu instid0(VALU_DEP_3) | instskip(NEXT) | instid1(VALU_DEP_3)
	v_add_f16_e32 v17, v28, v17
	v_add_f16_e64 v65, v230, v65
	v_mul_f16_e64 v230, 0xb9fd, v37
	v_fma_f16 v28, v162, 0xb9fd, -v205
	s_delay_alu instid0(VALU_DEP_4) | instskip(SKIP_1) | instid1(VALU_DEP_4)
	v_add_f16_e32 v17, v27, v17
	v_mul_u32_u24_e32 v27, 52, v113
	v_fma_f16 v231, 0x394e, v177, v230
	v_fmac_f16_e64 v230, 0xb94e, v177
	s_delay_alu instid0(VALU_DEP_4) | instskip(NEXT) | instid1(VALU_DEP_4)
	v_add_f16_e32 v17, v22, v17
	v_or_b32_e32 v19, v27, v100
	s_delay_alu instid0(VALU_DEP_4) | instskip(SKIP_2) | instid1(VALU_DEP_4)
	v_add_f16_e64 v227, v231, v227
	v_mul_f16_e64 v231, 0x388b, v155
	v_add_f16_e64 v226, v230, v226
	v_lshlrev_b32_e32 v19, 2, v19
	s_delay_alu instid0(VALU_DEP_3) | instskip(SKIP_1) | instid1(VALU_DEP_2)
	v_fma_f16 v232, 0xba95, v181, v231
	v_fmac_f16_e64 v231, 0x3a95, v181
	v_add_f16_e64 v227, v232, v227
	v_fma_f16 v232, 0x3b15, v25, v185
	v_fma_f16 v185, v25, 0x3b15, -v185
	s_delay_alu instid0(VALU_DEP_4) | instskip(NEXT) | instid1(VALU_DEP_3)
	v_add_f16_e64 v226, v231, v226
	v_add_f16_e64 v64, v232, v64
	v_mul_f16_e64 v232, 0xb5ac, v164
	s_delay_alu instid0(VALU_DEP_4) | instskip(NEXT) | instid1(VALU_DEP_2)
	v_add_f16_e64 v55, v185, v55
	v_fma_f16 v233, 0x3b7b, v184, v232
	v_fmac_f16_e64 v232, 0xbb7b, v184
	s_delay_alu instid0(VALU_DEP_2) | instskip(SKIP_2) | instid1(VALU_DEP_4)
	v_add_f16_e64 v227, v233, v227
	v_fma_f16 v233, 0xb9fd, v35, v188
	v_fma_f16 v188, v35, 0xb9fd, -v188
	v_add_f16_e64 v226, v232, v226
	s_delay_alu instid0(VALU_DEP_3) | instskip(NEXT) | instid1(VALU_DEP_3)
	v_add_f16_e64 v64, v233, v64
	v_add_f16_e64 v55, v188, v55
	;; [unrolled: 1-line block ×3, first 2 shown]
	s_delay_alu instid0(VALU_DEP_3) | instskip(NEXT) | instid1(VALU_DEP_3)
	v_add_f16_e64 v64, v228, v64
	v_add_f16_e64 v55, v189, v55
	v_fma_f16 v189, v25, 0x2fb7, -v220
	v_mul_f16_e32 v25, 0x388b, v25
	v_fma_f16 v228, 0xb5ac, v160, v190
	v_add_f16_e64 v188, v219, v188
	s_delay_alu instid0(VALU_DEP_4) | instskip(NEXT) | instid1(VALU_DEP_4)
	v_add_f16_e64 v57, v189, v57
	v_sub_f16_e32 v25, v25, v26
	v_fma_f16 v189, v160, 0xb5ac, -v190
	v_add_f16_e64 v26, v30, v149
	v_add_f16_e64 v64, v228, v64
	v_mul_f16_e64 v228, 0x2fb7, v172
	v_add_f16_e32 v13, v25, v13
	v_mul_f16_e32 v25, 0x2fb7, v35
	v_add_f16_e64 v55, v189, v55
	v_fma_f16 v189, v35, 0x388b, -v222
	v_add_f16_e64 v26, v26, v146
	v_fma_f16 v190, v160, 0x3b15, -v225
	v_sub_f16_e32 v25, v25, v36
	v_fma_f16 v230, 0xbbf1, v187, v228
	v_add_f16_e64 v57, v189, v57
	v_fma_f16 v189, v153, 0xbbc4, -v224
	v_add_f16_e64 v23, v26, v145
	v_add_f16_e32 v13, v25, v13
	v_mul_f16_e64 v25, 0xb5ac, v153
	v_add_f16_e64 v188, v221, v188
	v_add_f16_e64 v57, v189, v57
	;; [unrolled: 1-line block ×4, first 2 shown]
	v_sub_f16_e64 v25, v25, v154
	v_fma_f16 v26, v162, 0x388b, -v217
	v_add_f16_e64 v57, v190, v57
	v_add_f16_e64 v189, v204, v189
	;; [unrolled: 1-line block ×3, first 2 shown]
	v_add_f16_e32 v13, v25, v13
	v_mul_f16_e64 v25, 0xb9fd, v160
	v_mul_f16_e64 v23, 0xbbc4, v172
	v_add_f16_e64 v158, v206, v189
	v_add_f16_e64 v20, v21, v142
	;; [unrolled: 1-line block ×3, first 2 shown]
	v_sub_f16_e64 v25, v25, v161
	v_add_f16_e64 v22, v173, v23
	v_mul_f16_e64 v23, 0xbbc4, v162
	v_add_f16_e64 v158, v207, v158
	v_add_f16_e64 v20, v20, v141
	v_add_f16_e32 v13, v25, v13
	v_fma_f16 v25, v162, 0xb5ac, -v229
	v_sub_f16_e64 v23, v23, v163
	v_add_f16_e64 v158, v209, v158
	v_add_f16_e32 v17, v22, v17
	v_add_f16_e32 v22, v24, v32
	v_fma_f16 v230, 0x2fb7, v162, v191
	v_add_f16_e32 v13, v23, v13
	v_add_f16_e32 v23, v28, v60
	v_fmac_f16_e64 v228, 0x3bf1, v187
	v_fma_f16 v21, v162, 0x2fb7, -v191
	v_add_f16_e64 v188, v223, v188
	v_add_f16_e64 v158, v211, v158
	v_pack_b32_f16 v18, v18, v20
	v_pack_b32_f16 v13, v13, v17
	;; [unrolled: 1-line block ×4, first 2 shown]
	v_add_f16_e32 v22, v26, v61
	v_add_f16_e32 v23, v25, v57
	v_add_f16_e64 v64, v230, v64
	v_add_f16_e64 v185, v228, v226
	v_add_f16_e32 v21, v21, v55
	ds_store_2addr_b32 v19, v18, v13 offset1:4
	ds_store_2addr_b32 v19, v17, v20 offset0:8 offset1:12
	v_pack_b32_f16 v13, v22, v158
	v_pack_b32_f16 v17, v23, v188
	;; [unrolled: 1-line block ×7, first 2 shown]
	v_perm_b32 v24, v131, v14, 0x5040100
	v_perm_b32 v25, v132, v130, 0x5040100
	ds_store_2addr_b32 v19, v13, v17 offset0:16 offset1:20
	ds_store_2addr_b32 v19, v18, v20 offset0:24 offset1:28
	;; [unrolled: 1-line block ×4, first 2 shown]
	ds_store_b32 v19, v25 offset:192
.LBB0_5:
	s_wait_alu 0xfffe
	s_or_b32 exec_lo, exec_lo, s0
	v_lshlrev_b32_e32 v30, 2, v87
	global_wb scope:SCOPE_SE
	s_wait_dscnt 0x0
	s_barrier_signal -1
	s_barrier_wait -1
	global_inv scope:SCOPE_SE
	global_load_b32 v145, v30, s[10:11] offset:200
	v_and_b32_e32 v17, 0xff, v139
	v_and_b32_e32 v20, 0xffff, v134
	v_add_nc_u32_e32 v218, 0x800, v83
	ds_load_2addr_b32 v[22:23], v83 offset1:52
	v_and_b32_e32 v13, 0xff, v138
	v_mul_lo_u16 v17, 0x4f, v17
	v_mul_u32_u24_e32 v20, 0x4ec5, v20
	v_add_nc_u32_e32 v220, 0x200, v83
	v_add_nc_u32_e32 v219, 0xc00, v83
	v_mul_lo_u16 v13, 0x4f, v13
	v_lshrrev_b16 v17, 12, v17
	v_lshrrev_b32_e32 v20, 20, v20
	v_add_nc_u32_e32 v37, 0x400, v83
	v_add_nc_u32_e32 v221, 0x600, v83
	v_lshrrev_b16 v13, 12, v13
	v_mul_lo_u16 v17, v17, 52
	v_mul_lo_u16 v20, v20, 52
	v_add_nc_u32_e32 v222, 0xe00, v83
	s_delay_alu instid0(VALU_DEP_4) | instskip(NEXT) | instid1(VALU_DEP_4)
	v_mul_lo_u16 v13, v13, 52
	v_sub_nc_u16 v18, v139, v17
	v_and_b32_e32 v17, 0xffff, v135
	v_sub_nc_u16 v27, v134, v20
	ds_load_2addr_b32 v[20:21], v218 offset0:112 offset1:164
	v_sub_nc_u16 v13, v138, v13
	v_and_b32_e32 v18, 0xff, v18
	v_mul_u32_u24_e32 v17, 0x4ec5, v17
	v_and_b32_e32 v27, 0xffff, v27
	s_delay_alu instid0(VALU_DEP_4) | instskip(NEXT) | instid1(VALU_DEP_4)
	v_and_b32_e32 v13, 0xff, v13
	v_lshlrev_b32_e32 v142, 2, v18
	s_delay_alu instid0(VALU_DEP_4) | instskip(NEXT) | instid1(VALU_DEP_3)
	v_lshrrev_b32_e32 v17, 20, v17
	v_lshlrev_b32_e32 v143, 2, v13
	v_add_nc_u32_e32 v13, 0xa00, v83
	s_delay_alu instid0(VALU_DEP_3) | instskip(NEXT) | instid1(VALU_DEP_1)
	v_mul_lo_u16 v17, v17, 52
	v_sub_nc_u16 v19, v135, v17
	v_and_b32_e32 v17, 0xffff, v136
	v_lshlrev_b32_e32 v135, 2, v27
	s_delay_alu instid0(VALU_DEP_3) | instskip(NEXT) | instid1(VALU_DEP_3)
	v_and_b32_e32 v19, 0xffff, v19
	v_mul_u32_u24_e32 v17, 0x4ec5, v17
	s_delay_alu instid0(VALU_DEP_1) | instskip(NEXT) | instid1(VALU_DEP_1)
	v_lshrrev_b32_e32 v17, 20, v17
	v_mul_lo_u16 v17, v17, 52
	s_delay_alu instid0(VALU_DEP_1) | instskip(SKIP_1) | instid1(VALU_DEP_2)
	v_sub_nc_u16 v24, v136, v17
	v_and_b32_e32 v17, 0xffff, v137
	v_and_b32_e32 v24, 0xffff, v24
	s_delay_alu instid0(VALU_DEP_2) | instskip(NEXT) | instid1(VALU_DEP_2)
	v_mul_u32_u24_e32 v17, 0x4ec5, v17
	v_lshlrev_b32_e32 v136, 2, v24
	s_delay_alu instid0(VALU_DEP_2) | instskip(NEXT) | instid1(VALU_DEP_1)
	v_lshrrev_b32_e32 v17, 20, v17
	v_mul_lo_u16 v17, v17, 52
	s_delay_alu instid0(VALU_DEP_1) | instskip(SKIP_1) | instid1(VALU_DEP_2)
	v_sub_nc_u16 v17, v137, v17
	v_lshlrev_b32_e32 v137, 2, v19
	v_and_b32_e32 v17, 0xffff, v17
	s_delay_alu instid0(VALU_DEP_1)
	v_lshlrev_b32_e32 v134, 2, v17
	s_wait_dscnt 0x0
	v_lshrrev_b32_e32 v17, 16, v20
	global_load_b32 v144, v134, s[10:11] offset:200
	s_wait_loadcnt 0x1
	v_lshrrev_b32_e32 v147, 16, v145
	s_delay_alu instid0(VALU_DEP_1) | instskip(NEXT) | instid1(VALU_DEP_1)
	v_mul_f16_e64 v25, v20, v147
	v_fmac_f16_e64 v25, v17, v145
	v_mul_f16_e64 v17, v17, v147
	s_delay_alu instid0(VALU_DEP_1) | instskip(SKIP_1) | instid1(VALU_DEP_2)
	v_fma_f16 v17, v20, v145, -v17
	v_lshrrev_b32_e32 v20, 16, v22
	v_sub_f16_e32 v17, v22, v17
	s_delay_alu instid0(VALU_DEP_2) | instskip(NEXT) | instid1(VALU_DEP_1)
	v_sub_f16_e32 v25, v20, v25
	v_fma_f16 v20, v20, 2.0, -v25
	s_delay_alu instid0(VALU_DEP_3) | instskip(SKIP_2) | instid1(VALU_DEP_2)
	v_pack_b32_f16 v38, v17, v25
	v_fma_f16 v17, v22, 2.0, -v17
	v_and_b32_e32 v25, 0xffff, v167
	v_pack_b32_f16 v20, v17, v20
	v_and_b32_e32 v17, 0xffff, v169
	s_delay_alu instid0(VALU_DEP_3) | instskip(SKIP_1) | instid1(VALU_DEP_3)
	v_mul_u32_u24_e32 v26, 0x4ec5, v25
	v_and_b32_e32 v25, 0xffff, v166
	v_mul_u32_u24_e32 v22, 0x4ec5, v17
	v_and_b32_e32 v17, 0xffff, v168
	s_delay_alu instid0(VALU_DEP_3)
	v_mul_u32_u24_e32 v25, 0x4ec5, v25
	v_lshrrev_b32_e32 v31, 20, v26
	v_lshrrev_b32_e32 v26, 21, v26
	;; [unrolled: 1-line block ×3, first 2 shown]
	v_mul_u32_u24_e32 v17, 0x4ec5, v17
	v_lshrrev_b32_e32 v32, 20, v25
	v_mul_lo_u16 v31, v31, 52
	v_lshrrev_b32_e32 v25, 21, v25
	v_mul_lo_u16 v28, v28, 52
	;; [unrolled: 2-line block ×3, first 2 shown]
	v_sub_nc_u16 v31, v167, v31
	v_lshrrev_b32_e32 v17, 21, v17
	v_sub_nc_u16 v28, v169, v28
	v_mul_lo_u16 v29, v29, 52
	v_sub_nc_u16 v32, v166, v32
	v_and_b32_e32 v31, 0xffff, v31
	v_mul_lo_u16 v17, 0x68, v17
	v_and_b32_e32 v28, 0xffff, v28
	v_sub_nc_u16 v29, v168, v29
	v_and_b32_e32 v32, 0xffff, v32
	v_lshlrev_b32_e32 v139, 2, v31
	v_mul_lo_u16 v26, 0x68, v26
	v_lshlrev_b32_e32 v141, 2, v28
	v_and_b32_e32 v29, 0xffff, v29
	v_lshlrev_b32_e32 v138, 2, v32
	v_mul_lo_u16 v25, 0x68, v25
	v_sub_nc_u16 v70, v167, v26
	s_delay_alu instid0(VALU_DEP_4)
	v_lshlrev_b32_e32 v140, 2, v29
	s_clause 0x8
	global_load_b32 v155, v143, s[10:11] offset:200
	global_load_b32 v154, v142, s[10:11] offset:200
	;; [unrolled: 1-line block ×9, first 2 shown]
	v_add_nc_u32_e32 v29, 0x1000, v83
	ds_load_2addr_b32 v[18:19], v83 offset0:104 offset1:156
	ds_load_2addr_b32 v[27:28], v13 offset0:88 offset1:140
	;; [unrolled: 1-line block ×10, first 2 shown]
	global_wb scope:SCOPE_SE
	s_wait_loadcnt_dscnt 0x0
	s_barrier_signal -1
	s_barrier_wait -1
	global_inv scope:SCOPE_SE
	ds_store_2addr_b32 v83, v20, v38 offset1:52
	v_lshrrev_b32_e32 v20, 16, v21
	s_delay_alu instid0(VALU_DEP_1) | instskip(NEXT) | instid1(VALU_DEP_1)
	v_mul_f16_e64 v24, v20, v147
	v_fma_f16 v24, v21, v145, -v24
	v_mul_f16_e64 v21, v21, v147
	s_delay_alu instid0(VALU_DEP_1) | instskip(NEXT) | instid1(VALU_DEP_3)
	v_fmac_f16_e64 v21, v20, v145
	v_sub_f16_e32 v20, v23, v24
	v_lshrrev_b32_e32 v24, 16, v23
	v_lshrrev_b32_e32 v165, 16, v144
	s_delay_alu instid0(VALU_DEP_3) | instskip(NEXT) | instid1(VALU_DEP_3)
	v_fma_f16 v23, v23, 2.0, -v20
	v_sub_f16_e32 v21, v24, v21
	s_delay_alu instid0(VALU_DEP_1) | instskip(SKIP_1) | instid1(VALU_DEP_2)
	v_fma_f16 v24, v24, 2.0, -v21
	v_pack_b32_f16 v20, v20, v21
	v_pack_b32_f16 v21, v23, v24
	v_lshrrev_b32_e32 v23, 16, v18
	ds_store_2addr_b32 v83, v21, v20 offset0:104 offset1:156
	v_lshrrev_b32_e32 v20, 16, v27
	v_lshrrev_b32_e32 v156, 16, v155
	;; [unrolled: 1-line block ×6, first 2 shown]
	v_mul_f16_e64 v21, v27, v156
	s_delay_alu instid0(VALU_DEP_1) | instskip(SKIP_1) | instid1(VALU_DEP_2)
	v_fmac_f16_e64 v21, v20, v155
	v_mul_f16_e64 v20, v20, v156
	v_sub_f16_e32 v21, v23, v21
	s_delay_alu instid0(VALU_DEP_2) | instskip(NEXT) | instid1(VALU_DEP_2)
	v_fma_f16 v20, v27, v155, -v20
	v_fma_f16 v23, v23, 2.0, -v21
	s_delay_alu instid0(VALU_DEP_2) | instskip(NEXT) | instid1(VALU_DEP_1)
	v_sub_f16_e32 v20, v18, v20
	v_fma_f16 v18, v18, 2.0, -v20
	v_pack_b32_f16 v21, v20, v21
	v_add_nc_u32_e32 v20, 0x200, v143
	s_delay_alu instid0(VALU_DEP_3) | instskip(SKIP_4) | instid1(VALU_DEP_2)
	v_pack_b32_f16 v18, v18, v23
	v_lshlrev_b32_e32 v23, 2, v170
	ds_store_2addr_b32 v20, v18, v21 offset0:80 offset1:132
	v_lshrrev_b32_e32 v18, 16, v28
	v_mul_f16_e64 v21, v28, v157
	v_mul_f16_e64 v20, v18, v157
	s_delay_alu instid0(VALU_DEP_2) | instskip(NEXT) | instid1(VALU_DEP_2)
	v_fmac_f16_e64 v21, v18, v154
	v_fma_f16 v20, v28, v154, -v20
	s_delay_alu instid0(VALU_DEP_1) | instskip(SKIP_1) | instid1(VALU_DEP_2)
	v_sub_f16_e32 v18, v19, v20
	v_lshrrev_b32_e32 v20, 16, v19
	v_fma_f16 v19, v19, 2.0, -v18
	s_delay_alu instid0(VALU_DEP_2) | instskip(NEXT) | instid1(VALU_DEP_1)
	v_sub_f16_e32 v21, v20, v21
	v_fma_f16 v20, v20, 2.0, -v21
	v_pack_b32_f16 v18, v18, v21
	s_delay_alu instid0(VALU_DEP_2)
	v_pack_b32_f16 v19, v19, v20
	v_add_nc_u32_e32 v20, 0x400, v142
	ds_store_2addr_b32 v20, v19, v18 offset0:56 offset1:108
	v_lshrrev_b32_e32 v18, 16, v33
	v_mul_f16_e64 v19, v33, v158
	v_lshrrev_b32_e32 v20, 16, v31
	s_delay_alu instid0(VALU_DEP_2) | instskip(SKIP_1) | instid1(VALU_DEP_2)
	v_fmac_f16_e64 v19, v18, v153
	v_mul_f16_e64 v18, v18, v158
	v_sub_f16_e32 v19, v20, v19
	s_delay_alu instid0(VALU_DEP_2) | instskip(NEXT) | instid1(VALU_DEP_2)
	v_fma_f16 v18, v33, v153, -v18
	v_fma_f16 v20, v20, 2.0, -v19
	s_delay_alu instid0(VALU_DEP_2) | instskip(NEXT) | instid1(VALU_DEP_1)
	v_sub_f16_e32 v18, v31, v18
	v_pack_b32_f16 v19, v18, v19
	v_fma_f16 v18, v31, 2.0, -v18
	s_delay_alu instid0(VALU_DEP_1) | instskip(SKIP_4) | instid1(VALU_DEP_2)
	v_pack_b32_f16 v18, v18, v20
	v_add_nc_u32_e32 v20, 0x400, v141
	ds_store_2addr_b32 v20, v18, v19 offset0:160 offset1:212
	v_lshrrev_b32_e32 v18, 16, v34
	v_mul_f16_e64 v20, v34, v159
	v_mul_f16_e64 v19, v18, v159
	s_delay_alu instid0(VALU_DEP_2) | instskip(NEXT) | instid1(VALU_DEP_2)
	v_fmac_f16_e64 v20, v18, v152
	v_fma_f16 v19, v34, v152, -v19
	s_delay_alu instid0(VALU_DEP_1) | instskip(SKIP_1) | instid1(VALU_DEP_2)
	v_sub_f16_e32 v18, v32, v19
	v_lshrrev_b32_e32 v19, 16, v32
	v_fma_f16 v21, v32, 2.0, -v18
	s_delay_alu instid0(VALU_DEP_2) | instskip(NEXT) | instid1(VALU_DEP_1)
	v_sub_f16_e32 v20, v19, v20
	v_fma_f16 v19, v19, 2.0, -v20
	v_pack_b32_f16 v18, v18, v20
	v_add_nc_u32_e32 v20, 0x800, v140
	s_delay_alu instid0(VALU_DEP_3) | instskip(SKIP_4) | instid1(VALU_DEP_2)
	v_pack_b32_f16 v19, v21, v19
	ds_store_2addr_b32 v20, v19, v18 offset0:8 offset1:60
	v_lshrrev_b32_e32 v18, 16, v161
	v_mul_f16_e64 v19, v161, v160
	v_lshrrev_b32_e32 v20, 16, v35
	v_fmac_f16_e64 v19, v18, v151
	v_mul_f16_e64 v18, v18, v160
	s_delay_alu instid0(VALU_DEP_2) | instskip(NEXT) | instid1(VALU_DEP_2)
	v_sub_f16_e32 v19, v20, v19
	v_fma_f16 v18, v161, v151, -v18
	v_lshrrev_b32_e32 v161, 16, v150
	s_delay_alu instid0(VALU_DEP_3) | instskip(NEXT) | instid1(VALU_DEP_3)
	v_fma_f16 v20, v20, 2.0, -v19
	v_sub_f16_e32 v18, v35, v18
	s_delay_alu instid0(VALU_DEP_1) | instskip(SKIP_1) | instid1(VALU_DEP_1)
	v_pack_b32_f16 v19, v18, v19
	v_fma_f16 v18, v35, 2.0, -v18
	v_pack_b32_f16 v18, v18, v20
	v_add_nc_u32_e32 v20, 0x800, v139
	ds_store_2addr_b32 v20, v18, v19 offset0:112 offset1:164
	v_lshrrev_b32_e32 v18, 16, v162
	v_mul_f16_e64 v20, v162, v161
	s_delay_alu instid0(VALU_DEP_2) | instskip(NEXT) | instid1(VALU_DEP_2)
	v_mul_f16_e64 v19, v18, v161
	v_fmac_f16_e64 v20, v18, v150
	s_delay_alu instid0(VALU_DEP_2) | instskip(SKIP_1) | instid1(VALU_DEP_2)
	v_fma_f16 v19, v162, v150, -v19
	v_lshrrev_b32_e32 v162, 16, v149
	v_sub_f16_e32 v18, v36, v19
	v_lshrrev_b32_e32 v19, 16, v36
	s_delay_alu instid0(VALU_DEP_2) | instskip(NEXT) | instid1(VALU_DEP_2)
	v_fma_f16 v21, v36, 2.0, -v18
	v_sub_f16_e32 v20, v19, v20
	v_sub_nc_u16 v36, v168, v17
	s_delay_alu instid0(VALU_DEP_2) | instskip(SKIP_2) | instid1(VALU_DEP_3)
	v_fma_f16 v19, v19, 2.0, -v20
	v_pack_b32_f16 v18, v18, v20
	v_add_nc_u32_e32 v20, 0xa00, v138
	v_pack_b32_f16 v19, v21, v19
	ds_store_2addr_b32 v20, v19, v18 offset0:88 offset1:140
	v_lshrrev_b32_e32 v18, 16, v171
	v_mul_f16_e64 v19, v171, v162
	v_lshrrev_b32_e32 v20, 16, v163
	s_delay_alu instid0(VALU_DEP_2) | instskip(SKIP_1) | instid1(VALU_DEP_2)
	v_fmac_f16_e64 v19, v18, v149
	v_mul_f16_e64 v18, v18, v162
	v_sub_f16_e32 v19, v20, v19
	s_delay_alu instid0(VALU_DEP_2) | instskip(NEXT) | instid1(VALU_DEP_2)
	v_fma_f16 v18, v171, v149, -v18
	v_fma_f16 v20, v20, 2.0, -v19
	s_delay_alu instid0(VALU_DEP_2) | instskip(NEXT) | instid1(VALU_DEP_1)
	v_sub_f16_e64 v18, v163, v18
	v_pack_b32_f16 v19, v18, v19
	v_fma_f16 v18, v163, 2.0, -v18
	v_lshrrev_b32_e32 v163, 16, v148
	s_delay_alu instid0(VALU_DEP_2) | instskip(SKIP_4) | instid1(VALU_DEP_2)
	v_pack_b32_f16 v18, v18, v20
	v_add_nc_u32_e32 v20, 0xc00, v137
	ds_store_2addr_b32 v20, v18, v19 offset0:64 offset1:116
	v_lshrrev_b32_e32 v18, 16, v172
	v_mul_f16_e64 v20, v172, v163
	v_mul_f16_e64 v19, v18, v163
	s_delay_alu instid0(VALU_DEP_2) | instskip(NEXT) | instid1(VALU_DEP_2)
	v_fmac_f16_e64 v20, v18, v148
	v_fma_f16 v19, v172, v148, -v19
	s_delay_alu instid0(VALU_DEP_1) | instskip(SKIP_1) | instid1(VALU_DEP_2)
	v_sub_f16_e64 v18, v164, v19
	v_lshrrev_b32_e32 v19, 16, v164
	v_fma_f16 v21, v164, 2.0, -v18
	s_delay_alu instid0(VALU_DEP_2) | instskip(SKIP_1) | instid1(VALU_DEP_2)
	v_sub_f16_e32 v20, v19, v20
	v_lshrrev_b32_e32 v164, 16, v146
	v_fma_f16 v19, v19, 2.0, -v20
	v_pack_b32_f16 v18, v18, v20
	v_add_nc_u32_e32 v20, 0xc00, v136
	s_delay_alu instid0(VALU_DEP_3) | instskip(SKIP_4) | instid1(VALU_DEP_2)
	v_pack_b32_f16 v19, v21, v19
	ds_store_2addr_b32 v20, v19, v18 offset0:168 offset1:220
	v_lshrrev_b32_e32 v18, 16, v175
	v_mul_f16_e64 v19, v175, v164
	v_lshrrev_b32_e32 v20, 16, v173
	v_fmac_f16_e64 v19, v18, v146
	v_mul_f16_e64 v18, v18, v164
	s_delay_alu instid0(VALU_DEP_2) | instskip(NEXT) | instid1(VALU_DEP_2)
	v_sub_f16_e32 v19, v20, v19
	v_fma_f16 v18, v175, v146, -v18
	s_delay_alu instid0(VALU_DEP_2) | instskip(NEXT) | instid1(VALU_DEP_2)
	v_fma_f16 v20, v20, 2.0, -v19
	v_sub_f16_e64 v18, v173, v18
	s_delay_alu instid0(VALU_DEP_1) | instskip(SKIP_1) | instid1(VALU_DEP_1)
	v_pack_b32_f16 v19, v18, v19
	v_fma_f16 v18, v173, 2.0, -v18
	v_pack_b32_f16 v18, v18, v20
	v_add_nc_u32_e32 v20, 0x1000, v135
	ds_store_2addr_b32 v20, v18, v19 offset0:16 offset1:68
	v_lshrrev_b32_e32 v18, 16, v176
	v_mul_f16_e64 v20, v176, v165
	s_delay_alu instid0(VALU_DEP_2) | instskip(NEXT) | instid1(VALU_DEP_2)
	v_mul_f16_e64 v19, v18, v165
	v_fmac_f16_e64 v20, v18, v144
	s_delay_alu instid0(VALU_DEP_2) | instskip(NEXT) | instid1(VALU_DEP_1)
	v_fma_f16 v19, v176, v144, -v19
	v_sub_f16_e64 v18, v174, v19
	v_lshrrev_b32_e32 v19, 16, v174
	s_delay_alu instid0(VALU_DEP_2) | instskip(NEXT) | instid1(VALU_DEP_2)
	v_fma_f16 v21, v174, 2.0, -v18
	v_sub_f16_e32 v20, v19, v20
	s_delay_alu instid0(VALU_DEP_1) | instskip(SKIP_2) | instid1(VALU_DEP_3)
	v_fma_f16 v19, v19, 2.0, -v20
	v_pack_b32_f16 v18, v18, v20
	v_add_nc_u32_e32 v20, 0x1000, v134
	v_pack_b32_f16 v19, v21, v19
	ds_store_2addr_b32 v20, v19, v18 offset0:120 offset1:172
	v_lshrrev_b32_e32 v18, 21, v22
	global_wb scope:SCOPE_SE
	s_wait_dscnt 0x0
	s_barrier_signal -1
	s_barrier_wait -1
	global_inv scope:SCOPE_SE
	v_mul_lo_u16 v18, 0x68, v18
	s_delay_alu instid0(VALU_DEP_1) | instskip(SKIP_2) | instid1(VALU_DEP_3)
	v_sub_nc_u16 v31, v169, v18
	v_lshlrev_b16 v18, 3, v36
	v_and_b32_e32 v36, 0xffff, v36
	v_lshlrev_b16 v17, 3, v31
	s_delay_alu instid0(VALU_DEP_3) | instskip(SKIP_1) | instid1(VALU_DEP_3)
	v_and_b32_e32 v19, 0xffff, v18
	v_and_b32_e32 v31, 0xffff, v31
	;; [unrolled: 1-line block ×3, first 2 shown]
	s_delay_alu instid0(VALU_DEP_1)
	v_add_co_u32 v17, s0, s10, v17
	s_wait_alu 0xf1ff
	v_add_co_ci_u32_e64 v18, null, s11, 0, s0
	v_add_co_u32 v21, s0, s10, v19
	s_wait_alu 0xf1ff
	v_add_co_ci_u32_e64 v22, null, s11, 0, s0
	s_clause 0x3
	global_load_b64 v[19:20], v[17:18], off offset:408
	global_load_b64 v[17:18], v[21:22], off offset:408
	global_load_b64 v[23:24], v23, s[10:11] offset:408
	global_load_b64 v[21:22], v47, s[10:11] offset:408
	ds_load_2addr_b32 v[27:28], v37 offset0:160 offset1:212
	s_wait_dscnt 0x0
	v_lshrrev_b32_e32 v32, 16, v27
	v_lshrrev_b32_e32 v34, 16, v28
	s_wait_loadcnt 0x2
	v_lshrrev_b32_e32 v178, 16, v18
	s_wait_loadcnt 0x1
	;; [unrolled: 2-line block ×3, first 2 shown]
	v_lshrrev_b32_e32 v171, 16, v21
	v_lshrrev_b32_e32 v174, 16, v24
	;; [unrolled: 1-line block ×3, first 2 shown]
	v_mul_f16_e64 v33, v32, v173
	s_delay_alu instid0(VALU_DEP_4) | instskip(SKIP_2) | instid1(VALU_DEP_4)
	v_mul_f16_e64 v35, v34, v171
	v_mul_f16_e64 v38, v27, v173
	v_mul_f16_e64 v53, v28, v171
	v_fma_f16 v33, v27, v23, -v33
	s_delay_alu instid0(VALU_DEP_4)
	v_fma_f16 v35, v28, v21, -v35
	ds_load_2addr_b32 v[27:28], v219 offset0:64 offset1:116
	v_fmac_f16_e32 v38, v32, v23
	v_fmac_f16_e32 v53, v34, v21
	s_wait_dscnt 0x0
	v_lshrrev_b32_e32 v55, 16, v27
	v_lshrrev_b32_e32 v60, 16, v28
	v_mul_f16_e64 v64, v27, v174
	v_mul_f16_e64 v65, v28, v172
	s_delay_alu instid0(VALU_DEP_4) | instskip(NEXT) | instid1(VALU_DEP_4)
	v_mul_f16_e64 v57, v55, v174
	v_mul_f16_e64 v61, v60, v172
	s_delay_alu instid0(VALU_DEP_4) | instskip(NEXT) | instid1(VALU_DEP_4)
	v_fmac_f16_e32 v64, v55, v24
	v_fmac_f16_e32 v65, v60, v22
	s_delay_alu instid0(VALU_DEP_4) | instskip(NEXT) | instid1(VALU_DEP_4)
	v_fma_f16 v57, v27, v24, -v57
	v_fma_f16 v61, v28, v22, -v61
	ds_load_2addr_b32 v[27:28], v83 offset1:52
	v_sub_f16_e32 v26, v33, v57
	v_add_f16_e32 v32, v35, v61
	s_wait_dscnt 0x0
	v_lshrrev_b32_e32 v34, 16, v28
	v_add_f16_e32 v55, v28, v35
	s_delay_alu instid0(VALU_DEP_3) | instskip(SKIP_1) | instid1(VALU_DEP_4)
	v_fmac_f16_e32 v28, -0.5, v32
	v_add_f16_e32 v32, v53, v65
	v_add_f16_e32 v60, v34, v53
	s_delay_alu instid0(VALU_DEP_2) | instskip(SKIP_1) | instid1(VALU_DEP_1)
	v_fmac_f16_e32 v34, -0.5, v32
	v_sub_f16_e32 v32, v53, v65
	v_fmamk_f16 v53, v32, 0x3aee, v28
	v_fmac_f16_e32 v28, 0xbaee, v32
	v_sub_f16_e32 v32, v35, v61
	v_sub_f16_e32 v35, v38, v64
	s_delay_alu instid0(VALU_DEP_2) | instskip(SKIP_2) | instid1(VALU_DEP_2)
	v_fmamk_f16 v68, v32, 0xbaee, v34
	v_fmac_f16_e32 v34, 0x3aee, v32
	v_add_f16_e32 v32, v33, v57
	v_pack_b32_f16 v69, v28, v34
	s_delay_alu instid0(VALU_DEP_2) | instskip(SKIP_3) | instid1(VALU_DEP_3)
	v_fma_f16 v32, -0.5, v32, v27
	v_lshrrev_b32_e32 v28, 16, v27
	v_add_f16_e32 v27, v27, v33
	v_add_f16_e32 v34, v38, v64
	;; [unrolled: 1-line block ×3, first 2 shown]
	s_delay_alu instid0(VALU_DEP_3) | instskip(NEXT) | instid1(VALU_DEP_3)
	v_add_f16_e32 v27, v27, v57
	v_fmac_f16_e32 v28, -0.5, v34
	v_sub_nc_u16 v57, v166, v25
	v_lshlrev_b16 v25, 3, v70
	v_add_f16_e32 v33, v33, v64
	v_add_f16_e32 v34, v55, v61
	v_fmamk_f16 v55, v35, 0x3aee, v32
	v_fmac_f16_e32 v32, 0xbaee, v35
	v_fmamk_f16 v35, v26, 0xbaee, v28
	v_fmac_f16_e32 v28, 0x3aee, v26
	v_lshlrev_b16 v26, 3, v57
	v_and_b32_e32 v25, 0xffff, v25
	v_add_f16_e32 v38, v60, v65
	v_pack_b32_f16 v60, v27, v33
	v_pack_b32_f16 v61, v32, v28
	v_and_b32_e32 v27, 0xffff, v26
	v_add_co_u32 v25, s0, s10, v25
	s_wait_alu 0xf1ff
	v_add_co_ci_u32_e64 v26, null, s11, 0, s0
	s_delay_alu instid0(VALU_DEP_3)
	v_add_co_u32 v32, s0, s10, v27
	s_wait_alu 0xf1ff
	v_add_co_ci_u32_e64 v33, null, s11, 0, s0
	s_clause 0x1
	global_load_b64 v[27:28], v[25:26], off offset:408
	global_load_b64 v[25:26], v[32:33], off offset:408
	v_pack_b32_f16 v38, v34, v38
	v_pack_b32_f16 v55, v55, v35
	ds_load_2addr_b32 v[32:33], v218 offset0:8 offset1:60
	ds_load_2addr_b32 v[34:35], v83 offset0:104 offset1:156
	;; [unrolled: 1-line block ×9, first 2 shown]
	global_wb scope:SCOPE_SE
	s_wait_loadcnt_dscnt 0x0
	s_barrier_signal -1
	s_barrier_wait -1
	global_inv scope:SCOPE_SE
	ds_store_b32 v83, v55 offset:416
	ds_store_b32 v83, v61 offset:832
	ds_store_2addr_b32 v83, v60, v38 offset1:52
	v_and_b32_e32 v57, 0xffff, v57
	s_add_nc_u64 s[0:1], s[8:9], 0x1380
	v_lshrrev_b32_e32 v60, 16, v33
	v_lshrrev_b32_e32 v38, 16, v32
	;; [unrolled: 1-line block ×4, first 2 shown]
	s_delay_alu instid0(VALU_DEP_4) | instskip(NEXT) | instid1(VALU_DEP_4)
	v_mul_f16_e64 v61, v60, v171
	v_mul_f16_e64 v55, v38, v173
	s_delay_alu instid0(VALU_DEP_4) | instskip(NEXT) | instid1(VALU_DEP_4)
	v_mul_f16_e64 v175, v170, v172
	v_mul_f16_e64 v65, v64, v174
	s_delay_alu instid0(VALU_DEP_4) | instskip(SKIP_1) | instid1(VALU_DEP_4)
	v_fma_f16 v61, v33, v21, -v61
	v_mul_f16_e64 v33, v33, v171
	v_fma_f16 v175, v167, v22, -v175
	v_mul_f16_e64 v167, v167, v172
	v_fma_f16 v55, v32, v23, -v55
	v_add_f16_e64 v176, v35, v61
	v_fmac_f16_e32 v33, v60, v21
	v_add_f16_e64 v60, v61, v175
	v_fmac_f16_e64 v167, v170, v22
	v_lshrrev_b32_e32 v170, 16, v35
	v_mul_f16_e64 v32, v32, v173
	v_fma_f16 v65, v166, v24, -v65
	v_fmac_f16_e32 v35, -0.5, v60
	v_add_f16_e64 v60, v33, v167
	v_add_f16_e64 v177, v170, v33
	v_sub_f16_e64 v33, v33, v167
	v_mul_f16_e64 v166, v166, v174
	v_fmac_f16_e32 v32, v38, v23
	v_fmac_f16_e64 v170, -0.5, v60
	s_delay_alu instid0(VALU_DEP_4)
	v_fmamk_f16 v60, v33, 0x3aee, v35
	v_fmac_f16_e32 v35, 0xbaee, v33
	v_sub_f16_e64 v33, v61, v175
	v_fmac_f16_e64 v166, v64, v24
	v_add_f16_e64 v64, v177, v167
	v_lshrrev_b32_e32 v177, 16, v19
	v_lshlrev_b32_e32 v167, 2, v36
	v_fma_f16 v61, 0xbaee, v33, v170
	v_fmac_f16_e64 v170, 0x3aee, v33
	v_add_f16_e32 v33, v55, v65
	s_delay_alu instid0(VALU_DEP_4) | instskip(NEXT) | instid1(VALU_DEP_3)
	v_add_nc_u32_e32 v36, 0x800, v167
	v_pack_b32_f16 v35, v35, v170
	v_lshrrev_b32_e32 v170, 16, v34
	s_delay_alu instid0(VALU_DEP_4) | instskip(SKIP_2) | instid1(VALU_DEP_4)
	v_fma_f16 v33, -0.5, v33, v34
	v_add_f16_e32 v34, v34, v55
	v_sub_f16_e32 v55, v55, v65
	v_add_f16_e64 v38, v170, v32
	s_delay_alu instid0(VALU_DEP_3) | instskip(NEXT) | instid1(VALU_DEP_2)
	v_add_f16_e32 v34, v34, v65
	v_add_f16_e64 v38, v38, v166
	s_delay_alu instid0(VALU_DEP_1)
	v_pack_b32_f16 v34, v34, v38
	v_add_f16_e64 v38, v176, v175
	v_lshrrev_b32_e32 v176, 16, v20
	ds_store_2addr_b32 v37, v69, v34 offset0:4 offset1:56
	v_add_f16_e64 v34, v32, v166
	v_sub_f16_e64 v32, v32, v166
	v_lshlrev_b32_e32 v166, 2, v31
	s_delay_alu instid0(VALU_DEP_3) | instskip(SKIP_1) | instid1(VALU_DEP_4)
	v_fmac_f16_e64 v170, -0.5, v34
	v_pack_b32_f16 v34, v38, v64
	v_fmamk_f16 v38, v32, 0x3aee, v33
	v_fmac_f16_e32 v33, 0xbaee, v32
	v_add_nc_u32_e32 v31, 0x800, v166
	v_fma_f16 v64, 0xbaee, v55, v170
	v_fmac_f16_e64 v170, 0x3aee, v55
	v_lshrrev_b32_e32 v55, 16, v179
	s_delay_alu instid0(VALU_DEP_3) | instskip(NEXT) | instid1(VALU_DEP_3)
	v_pack_b32_f16 v38, v38, v64
	v_pack_b32_f16 v32, v33, v170
	;; [unrolled: 1-line block ×3, first 2 shown]
	ds_store_2addr_b32 v37, v34, v38 offset0:108 offset1:160
	v_lshrrev_b32_e32 v34, 16, v181
	ds_store_2addr_b32 v221, v33, v32 offset0:84 offset1:136
	v_lshrrev_b32_e32 v32, 16, v168
	v_mul_f16_e64 v33, v168, v177
	v_mul_f16_e64 v38, v181, v176
	s_delay_alu instid0(VALU_DEP_2) | instskip(SKIP_1) | instid1(VALU_DEP_3)
	v_fmac_f16_e32 v33, v32, v19
	v_mul_f16_e64 v32, v32, v177
	v_fmac_f16_e32 v38, v34, v20
	v_mul_f16_e64 v34, v34, v176
	s_delay_alu instid0(VALU_DEP_4) | instskip(NEXT) | instid1(VALU_DEP_4)
	v_add_f16_e32 v60, v55, v33
	v_fma_f16 v32, v168, v19, -v32
	s_delay_alu instid0(VALU_DEP_4) | instskip(SKIP_4) | instid1(VALU_DEP_4)
	v_sub_f16_e32 v61, v33, v38
	v_add_f16_e32 v33, v33, v38
	v_fma_f16 v34, v181, v20, -v34
	v_add_f16_e32 v38, v60, v38
	v_add_f16_e64 v60, v179, v32
	v_fmac_f16_e32 v55, -0.5, v33
	s_delay_alu instid0(VALU_DEP_4) | instskip(SKIP_1) | instid1(VALU_DEP_4)
	v_add_f16_e32 v64, v32, v34
	v_sub_f16_e32 v32, v32, v34
	v_add_f16_e32 v60, v60, v34
	v_pack_b32_f16 v34, v53, v68
	ds_store_b32 v83, v34 offset:624
	ds_store_b32 v83, v35 offset:2288
	v_pack_b32_f16 v33, v60, v38
	v_fma_f16 v38, -0.5, v64, v179
	v_fmamk_f16 v60, v32, 0xbaee, v55
	v_lshrrev_b32_e32 v179, 16, v17
	v_lshrrev_b32_e32 v35, 16, v182
	v_fmac_f16_e32 v55, 0x3aee, v32
	v_fmamk_f16 v53, v61, 0x3aee, v38
	v_fmac_f16_e32 v38, 0xbaee, v61
	v_mul_f16_e64 v34, v169, v179
	s_delay_alu instid0(VALU_DEP_3)
	v_pack_b32_f16 v53, v53, v60
	v_mul_f16_e64 v60, v182, v178
	ds_store_2addr_b32 v31, v33, v53 offset0:112 offset1:216
	v_lshrrev_b32_e32 v31, 16, v169
	v_mul_f16_e64 v53, v35, v178
	v_fmac_f16_e32 v60, v35, v18
	s_delay_alu instid0(VALU_DEP_3) | instskip(NEXT) | instid1(VALU_DEP_3)
	v_mul_f16_e64 v33, v31, v179
	v_fma_f16 v53, v182, v18, -v53
	v_fmac_f16_e32 v34, v31, v17
	s_delay_alu instid0(VALU_DEP_3) | instskip(NEXT) | instid1(VALU_DEP_2)
	v_fma_f16 v33, v169, v17, -v33
	v_add_f16_e32 v65, v34, v60
	s_delay_alu instid0(VALU_DEP_2) | instskip(SKIP_2) | instid1(VALU_DEP_3)
	v_add_f16_e64 v31, v180, v33
	v_add_f16_e32 v35, v33, v53
	v_sub_f16_e32 v33, v33, v53
	v_add_f16_e32 v31, v31, v53
	v_lshrrev_b32_e32 v53, 16, v180
	s_delay_alu instid0(VALU_DEP_4) | instskip(NEXT) | instid1(VALU_DEP_2)
	v_fmac_f16_e64 v180, -0.5, v35
	v_add_f16_e32 v64, v53, v34
	v_sub_f16_e32 v34, v34, v60
	v_fmac_f16_e32 v53, -0.5, v65
	s_delay_alu instid0(VALU_DEP_3) | instskip(NEXT) | instid1(VALU_DEP_3)
	v_add_f16_e32 v60, v64, v60
	v_fma_f16 v35, 0x3aee, v34, v180
	v_lshrrev_b32_e32 v64, 16, v183
	v_fmac_f16_e64 v180, 0xbaee, v34
	s_delay_alu instid0(VALU_DEP_4) | instskip(SKIP_2) | instid1(VALU_DEP_2)
	v_pack_b32_f16 v31, v31, v60
	v_fmamk_f16 v60, v33, 0xbaee, v53
	v_fmac_f16_e32 v53, 0x3aee, v33
	v_pack_b32_f16 v35, v35, v60
	s_delay_alu instid0(VALU_DEP_2)
	v_pack_b32_f16 v33, v180, v53
	ds_store_2addr_b32 v36, v31, v35 offset0:112 offset1:216
	v_lshrrev_b32_e32 v31, 16, v185
	v_lshrrev_b32_e32 v36, 16, v187
	;; [unrolled: 1-line block ×4, first 2 shown]
	s_delay_alu instid0(VALU_DEP_2) | instskip(NEXT) | instid1(VALU_DEP_2)
	v_mul_f16_e64 v35, v185, v182
	v_mul_f16_e64 v60, v187, v181
	s_delay_alu instid0(VALU_DEP_2) | instskip(NEXT) | instid1(VALU_DEP_2)
	v_fmac_f16_e32 v35, v31, v27
	v_fmac_f16_e32 v60, v36, v28
	v_mul_f16_e64 v31, v31, v182
	v_mul_f16_e64 v36, v36, v181
	s_delay_alu instid0(VALU_DEP_4) | instskip(NEXT) | instid1(VALU_DEP_4)
	v_add_f16_e32 v65, v64, v35
	v_sub_f16_e32 v68, v35, v60
	s_delay_alu instid0(VALU_DEP_4) | instskip(NEXT) | instid1(VALU_DEP_4)
	v_fma_f16 v31, v185, v27, -v31
	v_fma_f16 v36, v187, v28, -v36
	v_add_f16_e32 v35, v35, v60
	v_add_f16_e32 v60, v65, v60
	v_lshrrev_b32_e32 v187, 16, v25
	v_add_f16_e64 v65, v183, v31
	v_add_f16_e32 v69, v31, v36
	v_sub_f16_e32 v31, v31, v36
	v_fmac_f16_e32 v64, -0.5, v35
	s_delay_alu instid0(VALU_DEP_4) | instskip(NEXT) | instid1(VALU_DEP_4)
	v_add_f16_e32 v65, v65, v36
	v_fma_f16 v36, -0.5, v69, v183
	v_lshrrev_b32_e32 v69, 16, v188
	s_delay_alu instid0(VALU_DEP_3) | instskip(NEXT) | instid1(VALU_DEP_3)
	v_pack_b32_f16 v35, v65, v60
	v_fmamk_f16 v60, v68, 0x3aee, v36
	v_fmamk_f16 v65, v31, 0xbaee, v64
	v_fmac_f16_e32 v36, 0xbaee, v68
	v_fmac_f16_e32 v64, 0x3aee, v31
	v_pack_b32_f16 v31, v38, v55
	s_delay_alu instid0(VALU_DEP_4) | instskip(SKIP_1) | instid1(VALU_DEP_4)
	v_pack_b32_f16 v60, v60, v65
	v_and_b32_e32 v65, 0xffff, v70
	v_pack_b32_f16 v32, v36, v64
	s_delay_alu instid0(VALU_DEP_2) | instskip(NEXT) | instid1(VALU_DEP_1)
	v_lshlrev_b32_e32 v169, 2, v65
	v_add_nc_u32_e32 v65, 0xe00, v169
	ds_store_2addr_b32 v65, v35, v60 offset0:40 offset1:144
	v_lshrrev_b32_e32 v35, 16, v186
	v_mul_f16_e64 v65, v186, v187
	s_delay_alu instid0(VALU_DEP_2) | instskip(NEXT) | instid1(VALU_DEP_2)
	v_mul_f16_e64 v60, v35, v187
	v_fmac_f16_e32 v65, v35, v25
	s_delay_alu instid0(VALU_DEP_2) | instskip(SKIP_1) | instid1(VALU_DEP_2)
	v_fma_f16 v60, v186, v25, -v60
	v_lshrrev_b32_e32 v186, 16, v26
	v_add_f16_e64 v35, v184, v60
	s_delay_alu instid0(VALU_DEP_2) | instskip(SKIP_1) | instid1(VALU_DEP_2)
	v_mul_f16_e64 v70, v69, v186
	v_mul_f16_e64 v168, v188, v186
	v_fma_f16 v70, v188, v26, -v70
	s_delay_alu instid0(VALU_DEP_2) | instskip(NEXT) | instid1(VALU_DEP_2)
	v_fmac_f16_e64 v168, v69, v26
	v_add_f16_e32 v69, v60, v70
	v_sub_f16_e32 v60, v60, v70
	v_add_f16_e32 v35, v35, v70
	v_lshrrev_b32_e32 v70, 16, v184
	v_add_f16_e64 v175, v65, v168
	v_fmac_f16_e64 v184, -0.5, v69
	s_delay_alu instid0(VALU_DEP_3) | instskip(SKIP_1) | instid1(VALU_DEP_4)
	v_add_f16_e64 v170, v70, v65
	v_sub_f16_e64 v65, v65, v168
	v_fmac_f16_e64 v70, -0.5, v175
	s_delay_alu instid0(VALU_DEP_3) | instskip(NEXT) | instid1(VALU_DEP_3)
	v_add_f16_e64 v168, v170, v168
	v_fma_f16 v69, 0x3aee, v65, v184
	v_lshlrev_b32_e32 v170, 2, v57
	v_fmac_f16_e64 v184, 0xbaee, v65
	s_delay_alu instid0(VALU_DEP_4) | instskip(SKIP_3) | instid1(VALU_DEP_3)
	v_pack_b32_f16 v35, v35, v168
	v_fma_f16 v168, 0xbaee, v60, v70
	v_fmac_f16_e32 v70, 0x3aee, v60
	v_add_nc_u32_e32 v57, 0xe00, v170
	v_pack_b32_f16 v69, v69, v168
	s_delay_alu instid0(VALU_DEP_3)
	v_pack_b32_f16 v34, v184, v70
	ds_store_2addr_b32 v57, v35, v69 offset0:40 offset1:144
	ds_store_b32 v166, v31 offset:3328
	ds_store_b32 v169, v32 offset:4576
	;; [unrolled: 1-line block ×4, first 2 shown]
	global_wb scope:SCOPE_SE
	s_wait_dscnt 0x0
	s_barrier_signal -1
	s_barrier_wait -1
	global_inv scope:SCOPE_SE
	s_clause 0x5
	global_load_b32 v168, v30, s[10:11] offset:1240
	global_load_b32 v175, v30, s[10:11] offset:1448
	;; [unrolled: 1-line block ×6, first 2 shown]
	ds_load_2addr_b32 v[31:32], v218 offset0:112 offset1:164
	s_wait_dscnt 0x0
	v_lshrrev_b32_e32 v33, 16, v31
	v_lshrrev_b32_e32 v35, 16, v32
	s_wait_loadcnt 0x5
	v_lshrrev_b32_e32 v190, 16, v168
	s_wait_loadcnt 0x4
	;; [unrolled: 2-line block ×5, first 2 shown]
	v_lshrrev_b32_e32 v193, 16, v183
	v_mul_f16_e64 v34, v33, v190
	v_mul_f16_e64 v36, v35, v189
	;; [unrolled: 1-line block ×4, first 2 shown]
	s_delay_alu instid0(VALU_DEP_4) | instskip(NEXT) | instid1(VALU_DEP_4)
	v_fma_f16 v34, v31, v168, -v34
	v_fma_f16 v36, v32, v175, -v36
	ds_load_2addr_b32 v[31:32], v83 offset1:52
	v_fmac_f16_e64 v38, v33, v168
	v_fmac_f16_e64 v53, v35, v175
	s_wait_dscnt 0x0
	v_sub_f16_e32 v33, v31, v34
	v_lshrrev_b32_e32 v34, 16, v31
	v_sub_f16_e32 v55, v32, v36
	v_lshrrev_b32_e32 v35, 16, v32
	s_delay_alu instid0(VALU_DEP_4) | instskip(NEXT) | instid1(VALU_DEP_4)
	v_fma_f16 v31, v31, 2.0, -v33
	v_sub_f16_e32 v36, v34, v38
	s_delay_alu instid0(VALU_DEP_4) | instskip(NEXT) | instid1(VALU_DEP_4)
	v_fma_f16 v32, v32, 2.0, -v55
	v_sub_f16_e32 v53, v35, v53
	s_delay_alu instid0(VALU_DEP_3) | instskip(SKIP_1) | instid1(VALU_DEP_2)
	v_fma_f16 v34, v34, 2.0, -v36
	v_pack_b32_f16 v38, v33, v36
	v_pack_b32_f16 v57, v31, v34
	s_delay_alu instid0(VALU_DEP_4) | instskip(NEXT) | instid1(VALU_DEP_1)
	v_fma_f16 v31, v35, 2.0, -v53
	v_pack_b32_f16 v60, v32, v31
	ds_load_2addr_b32 v[31:32], v83 offset0:104 offset1:156
	ds_load_2addr_b32 v[33:34], v13 offset0:88 offset1:140
	;; [unrolled: 1-line block ×10, first 2 shown]
	global_wb scope:SCOPE_SE
	s_wait_loadcnt_dscnt 0x0
	s_barrier_signal -1
	s_barrier_wait -1
	global_inv scope:SCOPE_SE
	ds_store_b32 v83, v38 offset:1248
	ds_store_2addr_b32 v83, v57, v60 offset1:52
	v_pack_b32_f16 v38, v55, v53
	v_lshrrev_b32_e32 v53, 16, v33
	v_mul_f16_e64 v55, v33, v191
	s_delay_alu instid0(VALU_DEP_1) | instskip(SKIP_1) | instid1(VALU_DEP_1)
	v_fmac_f16_e64 v55, v53, v185
	v_mul_f16_e64 v53, v53, v191
	v_fma_f16 v33, v33, v185, -v53
	v_lshrrev_b32_e32 v53, 16, v31
	s_delay_alu instid0(VALU_DEP_2) | instskip(NEXT) | instid1(VALU_DEP_2)
	v_sub_f16_e32 v33, v31, v33
	v_sub_f16_e32 v55, v53, v55
	s_delay_alu instid0(VALU_DEP_2) | instskip(NEXT) | instid1(VALU_DEP_2)
	v_fma_f16 v31, v31, 2.0, -v33
	v_pack_b32_f16 v57, v33, v55
	v_lshrrev_b32_e32 v33, 16, v32
	ds_store_2addr_b32 v37, v38, v57 offset0:108 offset1:160
	v_lshrrev_b32_e32 v38, 16, v34
	s_delay_alu instid0(VALU_DEP_1) | instskip(NEXT) | instid1(VALU_DEP_1)
	v_mul_f16_e64 v57, v38, v192
	v_fma_f16 v57, v34, v184, -v57
	v_mul_f16_e64 v34, v34, v192
	s_delay_alu instid0(VALU_DEP_1) | instskip(SKIP_1) | instid1(VALU_DEP_4)
	v_fmac_f16_e64 v34, v38, v184
	v_fma_f16 v38, v53, 2.0, -v55
	v_sub_f16_e32 v53, v32, v57
	s_delay_alu instid0(VALU_DEP_3) | instskip(NEXT) | instid1(VALU_DEP_3)
	v_sub_f16_e32 v34, v33, v34
	v_pack_b32_f16 v31, v31, v38
	s_delay_alu instid0(VALU_DEP_3) | instskip(NEXT) | instid1(VALU_DEP_3)
	v_fma_f16 v32, v32, 2.0, -v53
	v_fma_f16 v33, v33, 2.0, -v34
	s_delay_alu instid0(VALU_DEP_1)
	v_pack_b32_f16 v32, v32, v33
	v_mul_f16_e64 v33, v194, v193
	ds_store_2addr_b32 v83, v31, v32 offset0:104 offset1:156
	v_lshrrev_b32_e32 v32, 16, v194
	v_pack_b32_f16 v31, v53, v34
	v_lshrrev_b32_e32 v34, 16, v35
	s_delay_alu instid0(VALU_DEP_3) | instskip(SKIP_1) | instid1(VALU_DEP_2)
	v_fmac_f16_e64 v33, v32, v183
	v_mul_f16_e64 v32, v32, v193
	v_sub_f16_e32 v33, v34, v33
	s_delay_alu instid0(VALU_DEP_2) | instskip(SKIP_1) | instid1(VALU_DEP_2)
	v_fma_f16 v32, v194, v183, -v32
	v_lshrrev_b32_e32 v194, 16, v180
	v_sub_f16_e32 v32, v35, v32
	s_delay_alu instid0(VALU_DEP_2) | instskip(NEXT) | instid1(VALU_DEP_2)
	v_mul_f16_e64 v53, v195, v194
	v_pack_b32_f16 v38, v32, v33
	v_fma_f16 v32, v35, 2.0, -v32
	ds_store_2addr_b32 v221, v31, v38 offset0:84 offset1:136
	v_lshrrev_b32_e32 v31, 16, v195
	s_delay_alu instid0(VALU_DEP_1) | instskip(SKIP_3) | instid1(VALU_DEP_4)
	v_mul_f16_e64 v38, v31, v194
	v_fmac_f16_e64 v53, v31, v180
	v_fma_f16 v31, v34, 2.0, -v33
	v_lshrrev_b32_e32 v34, 16, v36
	v_fma_f16 v38, v195, v180, -v38
	s_delay_alu instid0(VALU_DEP_3) | instskip(NEXT) | instid1(VALU_DEP_3)
	v_pack_b32_f16 v31, v32, v31
	v_sub_f16_e32 v32, v34, v53
	v_lshrrev_b32_e32 v53, 16, v200
	s_delay_alu instid0(VALU_DEP_4) | instskip(SKIP_1) | instid1(VALU_DEP_4)
	v_sub_f16_e32 v33, v36, v38
	v_mul_f16_e64 v38, v202, v191
	v_fma_f16 v34, v34, 2.0, -v32
	s_delay_alu instid0(VALU_DEP_3) | instskip(NEXT) | instid1(VALU_DEP_1)
	v_fma_f16 v35, v36, 2.0, -v33
	v_pack_b32_f16 v34, v35, v34
	ds_store_2addr_b32 v220, v31, v34 offset0:80 offset1:132
	v_pack_b32_f16 v31, v33, v32
	v_lshrrev_b32_e32 v32, 16, v198
	v_mul_f16_e64 v33, v198, v190
	v_lshrrev_b32_e32 v34, 16, v196
	s_delay_alu instid0(VALU_DEP_2) | instskip(SKIP_1) | instid1(VALU_DEP_2)
	v_fmac_f16_e64 v33, v32, v168
	v_mul_f16_e64 v32, v32, v190
	v_sub_f16_e32 v33, v34, v33
	s_delay_alu instid0(VALU_DEP_2) | instskip(NEXT) | instid1(VALU_DEP_2)
	v_fma_f16 v32, v198, v168, -v32
	v_fma_f16 v34, v34, 2.0, -v33
	s_delay_alu instid0(VALU_DEP_2) | instskip(NEXT) | instid1(VALU_DEP_1)
	v_sub_f16_e64 v32, v196, v32
	v_fma_f16 v35, v196, 2.0, -v32
	v_pack_b32_f16 v32, v32, v33
	s_delay_alu instid0(VALU_DEP_2) | instskip(SKIP_3) | instid1(VALU_DEP_1)
	v_pack_b32_f16 v34, v35, v34
	v_mul_f16_e64 v35, v199, v189
	ds_store_2addr_b32 v218, v31, v34 offset0:60 offset1:112
	v_lshrrev_b32_e32 v31, 16, v199
	v_mul_f16_e64 v34, v31, v189
	v_fmac_f16_e64 v35, v31, v175
	s_delay_alu instid0(VALU_DEP_2) | instskip(NEXT) | instid1(VALU_DEP_1)
	v_fma_f16 v34, v199, v175, -v34
	v_sub_f16_e64 v31, v197, v34
	v_lshrrev_b32_e32 v34, 16, v197
	s_delay_alu instid0(VALU_DEP_2) | instskip(NEXT) | instid1(VALU_DEP_2)
	v_fma_f16 v36, v197, 2.0, -v31
	v_sub_f16_e32 v35, v34, v35
	s_delay_alu instid0(VALU_DEP_1) | instskip(SKIP_2) | instid1(VALU_DEP_3)
	v_fma_f16 v34, v34, 2.0, -v35
	v_pack_b32_f16 v31, v31, v35
	v_mul_f16_e64 v35, v203, v192
	v_pack_b32_f16 v34, v36, v34
	v_lshrrev_b32_e32 v36, 16, v202
	s_delay_alu instid0(VALU_DEP_1) | instskip(SKIP_1) | instid1(VALU_DEP_2)
	v_fmac_f16_e64 v38, v36, v185
	v_mul_f16_e64 v36, v36, v191
	v_sub_f16_e32 v38, v53, v38
	s_delay_alu instid0(VALU_DEP_2) | instskip(NEXT) | instid1(VALU_DEP_2)
	v_fma_f16 v36, v202, v185, -v36
	v_fma_f16 v53, v53, 2.0, -v38
	s_delay_alu instid0(VALU_DEP_2) | instskip(NEXT) | instid1(VALU_DEP_1)
	v_sub_f16_e64 v36, v200, v36
	v_fma_f16 v55, v200, 2.0, -v36
	s_delay_alu instid0(VALU_DEP_1)
	v_pack_b32_f16 v53, v55, v53
	ds_store_2addr_b32 v218, v34, v53 offset0:164 offset1:216
	v_pack_b32_f16 v34, v36, v38
	v_mul_f16_e64 v38, v206, v193
	v_lshrrev_b32_e32 v53, 16, v204
	ds_store_2addr_b32 v222, v31, v34 offset0:92 offset1:144
	v_lshrrev_b32_e32 v31, 16, v203
	s_delay_alu instid0(VALU_DEP_1) | instskip(SKIP_1) | instid1(VALU_DEP_2)
	v_mul_f16_e64 v34, v31, v192
	v_fmac_f16_e64 v35, v31, v184
	v_fma_f16 v34, v203, v184, -v34
	s_delay_alu instid0(VALU_DEP_1) | instskip(SKIP_1) | instid1(VALU_DEP_2)
	v_sub_f16_e64 v31, v201, v34
	v_lshrrev_b32_e32 v34, 16, v201
	v_fma_f16 v36, v201, 2.0, -v31
	s_delay_alu instid0(VALU_DEP_2) | instskip(NEXT) | instid1(VALU_DEP_1)
	v_sub_f16_e32 v35, v34, v35
	v_fma_f16 v34, v34, 2.0, -v35
	v_pack_b32_f16 v31, v31, v35
	v_mul_f16_e64 v35, v207, v194
	s_delay_alu instid0(VALU_DEP_3) | instskip(SKIP_1) | instid1(VALU_DEP_1)
	v_pack_b32_f16 v34, v36, v34
	v_lshrrev_b32_e32 v36, 16, v206
	v_fmac_f16_e64 v38, v36, v183
	v_mul_f16_e64 v36, v36, v193
	s_delay_alu instid0(VALU_DEP_2) | instskip(NEXT) | instid1(VALU_DEP_2)
	v_sub_f16_e32 v38, v53, v38
	v_fma_f16 v36, v206, v183, -v36
	s_delay_alu instid0(VALU_DEP_2) | instskip(NEXT) | instid1(VALU_DEP_2)
	v_fma_f16 v53, v53, 2.0, -v38
	v_sub_f16_e64 v36, v204, v36
	s_delay_alu instid0(VALU_DEP_1) | instskip(NEXT) | instid1(VALU_DEP_1)
	v_fma_f16 v55, v204, 2.0, -v36
	v_pack_b32_f16 v53, v55, v53
	ds_store_2addr_b32 v219, v34, v53 offset0:12 offset1:64
	v_pack_b32_f16 v34, v36, v38
	ds_store_2addr_b32 v29, v31, v34 offset0:68 offset1:120
	v_lshrrev_b32_e32 v31, 16, v207
	s_delay_alu instid0(VALU_DEP_1) | instskip(SKIP_1) | instid1(VALU_DEP_2)
	v_mul_f16_e64 v34, v31, v194
	v_fmac_f16_e64 v35, v31, v180
	v_fma_f16 v34, v207, v180, -v34
	s_delay_alu instid0(VALU_DEP_1) | instskip(SKIP_1) | instid1(VALU_DEP_2)
	v_sub_f16_e64 v31, v205, v34
	v_lshrrev_b32_e32 v34, 16, v205
	v_fma_f16 v36, v205, 2.0, -v31
	s_delay_alu instid0(VALU_DEP_2) | instskip(NEXT) | instid1(VALU_DEP_1)
	v_sub_f16_e32 v33, v34, v35
	v_fma_f16 v34, v34, 2.0, -v33
	v_pack_b32_f16 v31, v31, v33
	s_delay_alu instid0(VALU_DEP_2)
	v_pack_b32_f16 v34, v36, v34
	ds_store_b32 v83, v31 offset:4784
	ds_store_2addr_b32 v219, v34, v32 offset0:116 offset1:168
	global_wb scope:SCOPE_SE
	s_wait_dscnt 0x0
	s_barrier_signal -1
	s_barrier_wait -1
	global_inv scope:SCOPE_SE
	s_clause 0x7
	global_load_b32 v188, v30, s[10:11] offset:2488
	global_load_b32 v195, v30, s[10:11] offset:2696
	;; [unrolled: 1-line block ×8, first 2 shown]
	ds_load_2addr_b32 v[31:32], v218 offset0:112 offset1:164
	s_wait_dscnt 0x0
	v_lshrrev_b32_e32 v33, 16, v31
	v_lshrrev_b32_e32 v35, 16, v32
	s_wait_loadcnt 0x7
	v_lshrrev_b32_e32 v203, 16, v188
	s_wait_loadcnt 0x6
	;; [unrolled: 2-line block ×5, first 2 shown]
	v_lshrrev_b32_e32 v206, 16, v198
	v_mul_f16_e64 v34, v33, v203
	v_mul_f16_e64 v36, v35, v202
	;; [unrolled: 1-line block ×4, first 2 shown]
	s_wait_loadcnt 0x0
	v_lshrrev_b32_e32 v210, 16, v201
	v_fma_f16 v34, v31, v188, -v34
	v_fma_f16 v36, v32, v195, -v36
	ds_load_2addr_b32 v[31:32], v83 offset1:52
	v_fmac_f16_e64 v38, v33, v188
	v_fmac_f16_e64 v53, v35, v195
	s_wait_dscnt 0x0
	v_lshrrev_b32_e32 v33, 16, v31
	v_sub_f16_e32 v34, v31, v34
	s_delay_alu instid0(VALU_DEP_2) | instskip(NEXT) | instid1(VALU_DEP_2)
	v_sub_f16_e32 v35, v33, v38
	v_fma_f16 v31, v31, 2.0, -v34
	v_sub_f16_e32 v38, v32, v36
	s_delay_alu instid0(VALU_DEP_3) | instskip(SKIP_2) | instid1(VALU_DEP_4)
	v_fma_f16 v33, v33, 2.0, -v35
	v_pack_b32_f16 v35, v34, v35
	v_lshrrev_b32_e32 v34, 16, v32
	v_fma_f16 v32, v32, 2.0, -v38
	s_delay_alu instid0(VALU_DEP_4) | instskip(SKIP_2) | instid1(VALU_DEP_1)
	v_pack_b32_f16 v55, v31, v33
	ds_store_b32 v83, v35 offset:2496
	v_sub_f16_e32 v53, v34, v53
	v_fma_f16 v31, v34, 2.0, -v53
	v_pack_b32_f16 v38, v38, v53
	s_delay_alu instid0(VALU_DEP_2)
	v_pack_b32_f16 v57, v32, v31
	ds_load_2addr_b32 v[31:32], v13 offset0:88 offset1:140
	ds_load_2addr_b32 v[33:34], v83 offset0:104 offset1:156
	;; [unrolled: 1-line block ×10, first 2 shown]
	ds_store_2addr_b32 v83, v55, v57 offset1:52
	s_wait_dscnt 0xa
	v_lshrrev_b32_e32 v53, 16, v31
	v_mul_f16_e64 v55, v31, v204
	s_delay_alu instid0(VALU_DEP_1) | instskip(SKIP_1) | instid1(VALU_DEP_1)
	v_fmac_f16_e64 v55, v53, v196
	v_mul_f16_e64 v53, v53, v204
	v_fma_f16 v31, v31, v196, -v53
	s_wait_dscnt 0x9
	v_lshrrev_b32_e32 v53, 16, v33
	s_delay_alu instid0(VALU_DEP_2) | instskip(NEXT) | instid1(VALU_DEP_2)
	v_sub_f16_e32 v31, v33, v31
	v_sub_f16_e32 v55, v53, v55
	s_delay_alu instid0(VALU_DEP_1) | instskip(SKIP_4) | instid1(VALU_DEP_1)
	v_pack_b32_f16 v57, v31, v55
	v_fma_f16 v31, v33, 2.0, -v31
	v_lshrrev_b32_e32 v33, 16, v34
	ds_store_2addr_b32 v218, v38, v57 offset0:164 offset1:216
	v_lshrrev_b32_e32 v38, 16, v32
	v_mul_f16_e64 v57, v38, v205
	s_delay_alu instid0(VALU_DEP_1) | instskip(SKIP_1) | instid1(VALU_DEP_1)
	v_fma_f16 v57, v32, v197, -v57
	v_mul_f16_e64 v32, v32, v205
	v_fmac_f16_e64 v32, v38, v197
	v_fma_f16 v38, v53, 2.0, -v55
	s_delay_alu instid0(VALU_DEP_4) | instskip(NEXT) | instid1(VALU_DEP_3)
	v_sub_f16_e32 v53, v34, v57
	v_sub_f16_e32 v32, v33, v32
	s_delay_alu instid0(VALU_DEP_3) | instskip(NEXT) | instid1(VALU_DEP_3)
	v_pack_b32_f16 v31, v31, v38
	v_fma_f16 v34, v34, 2.0, -v53
	s_delay_alu instid0(VALU_DEP_3) | instskip(NEXT) | instid1(VALU_DEP_1)
	v_fma_f16 v33, v33, 2.0, -v32
	v_pack_b32_f16 v33, v34, v33
	s_wait_dscnt 0x9
	v_lshrrev_b32_e32 v34, 16, v35
	ds_store_2addr_b32 v83, v31, v33 offset0:104 offset1:156
	v_pack_b32_f16 v31, v53, v32
	s_wait_dscnt 0x9
	v_lshrrev_b32_e32 v32, 16, v207
	v_mul_f16_e64 v33, v207, v206
	s_delay_alu instid0(VALU_DEP_1) | instskip(SKIP_1) | instid1(VALU_DEP_2)
	v_fmac_f16_e64 v33, v32, v198
	v_mul_f16_e64 v32, v32, v206
	v_sub_f16_e32 v33, v34, v33
	s_delay_alu instid0(VALU_DEP_2) | instskip(SKIP_1) | instid1(VALU_DEP_2)
	v_fma_f16 v32, v207, v198, -v32
	v_lshrrev_b32_e32 v207, 16, v199
	v_sub_f16_e32 v32, v35, v32
	s_delay_alu instid0(VALU_DEP_2) | instskip(NEXT) | instid1(VALU_DEP_2)
	v_mul_f16_e64 v53, v208, v207
	v_pack_b32_f16 v38, v32, v33
	v_fma_f16 v32, v35, 2.0, -v32
	ds_store_2addr_b32 v219, v31, v38 offset0:12 offset1:64
	v_lshrrev_b32_e32 v31, 16, v208
	s_delay_alu instid0(VALU_DEP_1) | instskip(SKIP_3) | instid1(VALU_DEP_4)
	v_mul_f16_e64 v38, v31, v207
	v_fmac_f16_e64 v53, v31, v199
	v_fma_f16 v31, v34, 2.0, -v33
	v_lshrrev_b32_e32 v34, 16, v36
	v_fma_f16 v38, v208, v199, -v38
	v_lshrrev_b32_e32 v208, 16, v200
	s_delay_alu instid0(VALU_DEP_4) | instskip(NEXT) | instid1(VALU_DEP_4)
	v_pack_b32_f16 v31, v32, v31
	v_sub_f16_e32 v32, v34, v53
	s_delay_alu instid0(VALU_DEP_4) | instskip(NEXT) | instid1(VALU_DEP_2)
	v_sub_f16_e32 v33, v36, v38
	v_fma_f16 v34, v34, 2.0, -v32
	s_delay_alu instid0(VALU_DEP_2) | instskip(SKIP_2) | instid1(VALU_DEP_2)
	v_fma_f16 v35, v36, 2.0, -v33
	s_wait_dscnt 0x8
	v_mul_f16_e64 v36, v214, v210
	v_pack_b32_f16 v34, v35, v34
	ds_store_2addr_b32 v220, v31, v34 offset0:80 offset1:132
	v_pack_b32_f16 v31, v33, v32
	v_lshrrev_b32_e32 v32, 16, v213
	v_mul_f16_e64 v33, v213, v208
	v_lshrrev_b32_e32 v34, 16, v211
	s_delay_alu instid0(VALU_DEP_2) | instskip(SKIP_1) | instid1(VALU_DEP_2)
	v_fmac_f16_e64 v33, v32, v200
	v_mul_f16_e64 v32, v32, v208
	v_sub_f16_e32 v33, v34, v33
	s_delay_alu instid0(VALU_DEP_2) | instskip(NEXT) | instid1(VALU_DEP_1)
	v_fma_f16 v32, v213, v200, -v32
	v_sub_f16_e64 v32, v211, v32
	s_delay_alu instid0(VALU_DEP_1) | instskip(SKIP_3) | instid1(VALU_DEP_1)
	v_pack_b32_f16 v35, v32, v33
	v_fma_f16 v32, v211, 2.0, -v32
	ds_store_2addr_b32 v219, v31, v35 offset0:116 offset1:168
	v_lshrrev_b32_e32 v31, 16, v214
	v_mul_f16_e64 v35, v31, v210
	v_fmac_f16_e64 v36, v31, v201
	v_fma_f16 v31, v34, 2.0, -v33
	v_lshrrev_b32_e32 v34, 16, v212
	s_delay_alu instid0(VALU_DEP_4) | instskip(NEXT) | instid1(VALU_DEP_3)
	v_fma_f16 v35, v214, v201, -v35
	v_pack_b32_f16 v31, v32, v31
	s_delay_alu instid0(VALU_DEP_3) | instskip(NEXT) | instid1(VALU_DEP_3)
	v_sub_f16_e32 v32, v34, v36
	v_sub_f16_e64 v33, v212, v35
	s_delay_alu instid0(VALU_DEP_2) | instskip(NEXT) | instid1(VALU_DEP_2)
	v_fma_f16 v34, v34, 2.0, -v32
	v_fma_f16 v35, v212, 2.0, -v33
	s_delay_alu instid0(VALU_DEP_1)
	v_pack_b32_f16 v34, v35, v34
	ds_store_2addr_b32 v37, v31, v34 offset0:56 offset1:108
	s_clause 0x3
	global_load_b32 v209, v30, s[10:11] offset:4152
	global_load_b32 v211, v30, s[10:11] offset:4360
	;; [unrolled: 1-line block ×4, first 2 shown]
	v_pack_b32_f16 v31, v33, v32
	s_wait_dscnt 0x9
	v_lshrrev_b32_e32 v32, 16, v223
	v_lshrrev_b32_e32 v34, 16, v216
	s_wait_loadcnt 0x3
	v_lshrrev_b32_e32 v214, 16, v209
	s_wait_loadcnt 0x2
	v_lshrrev_b32_e32 v215, 16, v211
	s_delay_alu instid0(VALU_DEP_2) | instskip(NEXT) | instid1(VALU_DEP_2)
	v_mul_f16_e64 v33, v223, v214
	v_mul_f16_e64 v36, v224, v215
	s_delay_alu instid0(VALU_DEP_2) | instskip(SKIP_1) | instid1(VALU_DEP_2)
	v_fmac_f16_e64 v33, v32, v209
	v_mul_f16_e64 v32, v32, v214
	v_sub_f16_e32 v33, v34, v33
	s_delay_alu instid0(VALU_DEP_2) | instskip(NEXT) | instid1(VALU_DEP_1)
	v_fma_f16 v32, v223, v209, -v32
	v_sub_f16_e64 v32, v216, v32
	s_delay_alu instid0(VALU_DEP_1)
	v_pack_b32_f16 v35, v32, v33
	v_fma_f16 v32, v216, 2.0, -v32
	s_wait_loadcnt 0x1
	v_lshrrev_b32_e32 v216, 16, v212
	ds_store_2addr_b32 v222, v31, v35 offset0:92 offset1:144
	v_lshrrev_b32_e32 v31, 16, v224
	s_delay_alu instid0(VALU_DEP_1) | instskip(SKIP_3) | instid1(VALU_DEP_4)
	v_mul_f16_e64 v35, v31, v215
	v_fmac_f16_e64 v36, v31, v211
	v_fma_f16 v31, v34, 2.0, -v33
	v_lshrrev_b32_e32 v34, 16, v217
	v_fma_f16 v35, v224, v211, -v35
	s_delay_alu instid0(VALU_DEP_3) | instskip(NEXT) | instid1(VALU_DEP_3)
	v_pack_b32_f16 v31, v32, v31
	v_sub_f16_e32 v32, v34, v36
	s_delay_alu instid0(VALU_DEP_3) | instskip(NEXT) | instid1(VALU_DEP_2)
	v_sub_f16_e64 v33, v217, v35
	v_fma_f16 v34, v34, 2.0, -v32
	s_delay_alu instid0(VALU_DEP_2) | instskip(SKIP_2) | instid1(VALU_DEP_2)
	v_fma_f16 v35, v217, 2.0, -v33
	s_wait_loadcnt 0x0
	v_lshrrev_b32_e32 v217, 16, v213
	v_pack_b32_f16 v34, v35, v34
	s_wait_dscnt 0x8
	s_delay_alu instid0(VALU_DEP_2)
	v_mul_f16_e64 v36, v228, v217
	ds_store_2addr_b32 v37, v31, v34 offset0:160 offset1:212
	v_pack_b32_f16 v31, v33, v32
	v_lshrrev_b32_e32 v32, 16, v227
	v_mul_f16_e64 v33, v227, v216
	v_lshrrev_b32_e32 v34, 16, v225
	s_delay_alu instid0(VALU_DEP_2) | instskip(SKIP_1) | instid1(VALU_DEP_2)
	v_fmac_f16_e64 v33, v32, v212
	v_mul_f16_e64 v32, v32, v216
	v_sub_f16_e32 v33, v34, v33
	s_delay_alu instid0(VALU_DEP_2) | instskip(NEXT) | instid1(VALU_DEP_1)
	v_fma_f16 v32, v227, v212, -v32
	v_sub_f16_e64 v32, v225, v32
	s_delay_alu instid0(VALU_DEP_1) | instskip(SKIP_3) | instid1(VALU_DEP_1)
	v_pack_b32_f16 v35, v32, v33
	v_fma_f16 v32, v225, 2.0, -v32
	ds_store_2addr_b32 v29, v31, v35 offset0:68 offset1:120
	v_lshrrev_b32_e32 v31, 16, v228
	v_mul_f16_e64 v35, v31, v217
	v_fmac_f16_e64 v36, v31, v213
	v_fma_f16 v31, v34, 2.0, -v33
	v_lshrrev_b32_e32 v34, 16, v226
	s_delay_alu instid0(VALU_DEP_4) | instskip(NEXT) | instid1(VALU_DEP_3)
	v_fma_f16 v35, v228, v213, -v35
	v_pack_b32_f16 v31, v32, v31
	s_delay_alu instid0(VALU_DEP_3) | instskip(NEXT) | instid1(VALU_DEP_3)
	v_sub_f16_e32 v32, v34, v36
	v_sub_f16_e64 v33, v226, v35
	s_delay_alu instid0(VALU_DEP_2) | instskip(NEXT) | instid1(VALU_DEP_2)
	v_fma_f16 v34, v34, 2.0, -v32
	v_fma_f16 v35, v226, 2.0, -v33
	s_delay_alu instid0(VALU_DEP_1)
	v_pack_b32_f16 v34, v35, v34
	ds_store_2addr_b32 v218, v31, v34 offset0:8 offset1:60
	v_pack_b32_f16 v31, v33, v32
	ds_store_b32 v83, v31 offset:4784
	global_wb scope:SCOPE_SE
	s_wait_dscnt 0x0
	s_barrier_signal -1
	s_barrier_wait -1
	global_inv scope:SCOPE_SE
	s_clause 0x7
	global_load_b32 v31, v[15:16], off offset:4992
	global_load_b32 v32, v30, s[0:1] offset:208
	global_load_b32 v33, v30, s[0:1] offset:416
	;; [unrolled: 1-line block ×7, first 2 shown]
	ds_load_2addr_b32 v[15:16], v83 offset1:52
	s_wait_dscnt 0x0
	v_lshrrev_b32_e32 v57, 16, v15
	s_wait_loadcnt 0x7
	v_lshrrev_b32_e32 v55, 16, v31
	s_delay_alu instid0(VALU_DEP_1) | instskip(NEXT) | instid1(VALU_DEP_3)
	v_mul_f16_e32 v60, v15, v55
	v_mul_f16_e32 v55, v57, v55
	s_delay_alu instid0(VALU_DEP_2) | instskip(NEXT) | instid1(VALU_DEP_2)
	v_fmac_f16_e32 v60, v57, v31
	v_fma_f16 v15, v15, v31, -v55
	v_lshrrev_b32_e32 v31, 16, v16
	s_wait_loadcnt 0x6
	v_lshrrev_b32_e32 v55, 16, v32
	s_delay_alu instid0(VALU_DEP_3) | instskip(NEXT) | instid1(VALU_DEP_2)
	v_pack_b32_f16 v15, v15, v60
	v_mul_f16_e32 v57, v31, v55
	v_mul_f16_e32 v55, v16, v55
	ds_store_b32 v83, v15
	v_fma_f16 v57, v16, v32, -v57
	v_fmac_f16_e32 v55, v31, v32
	s_clause 0x4
	global_load_b32 v31, v30, s[0:1] offset:2496
	global_load_b32 v32, v30, s[0:1] offset:2704
	;; [unrolled: 1-line block ×5, first 2 shown]
	ds_load_2addr_b32 v[15:16], v218 offset0:112 offset1:164
	v_pack_b32_f16 v55, v57, v55
	s_wait_dscnt 0x0
	v_lshrrev_b32_e32 v68, 16, v15
	s_wait_loadcnt 0x4
	v_lshrrev_b32_e32 v65, 16, v31
	s_delay_alu instid0(VALU_DEP_1) | instskip(NEXT) | instid1(VALU_DEP_3)
	v_mul_f16_e32 v69, v15, v65
	v_mul_f16_e32 v65, v68, v65
	s_delay_alu instid0(VALU_DEP_2) | instskip(NEXT) | instid1(VALU_DEP_2)
	v_fmac_f16_e32 v69, v68, v31
	v_fma_f16 v31, v15, v31, -v65
	s_wait_loadcnt 0x3
	v_lshrrev_b32_e32 v15, 16, v32
	v_lshrrev_b32_e32 v65, 16, v16
	s_delay_alu instid0(VALU_DEP_2) | instskip(NEXT) | instid1(VALU_DEP_2)
	v_mul_f16_e32 v70, v16, v15
	v_mul_f16_e32 v68, v65, v15
	s_delay_alu instid0(VALU_DEP_2) | instskip(NEXT) | instid1(VALU_DEP_2)
	v_fmac_f16_e32 v70, v65, v32
	v_fma_f16 v68, v16, v32, -v68
	ds_load_2addr_b32 v[15:16], v83 offset0:104 offset1:156
	v_lshrrev_b32_e32 v32, 16, v33
	s_wait_dscnt 0x0
	v_lshrrev_b32_e32 v65, 16, v15
	s_delay_alu instid0(VALU_DEP_2) | instskip(NEXT) | instid1(VALU_DEP_2)
	v_mul_f16_e64 v223, v15, v32
	v_mul_f16_e32 v32, v65, v32
	s_delay_alu instid0(VALU_DEP_2) | instskip(NEXT) | instid1(VALU_DEP_2)
	v_fmac_f16_e64 v223, v65, v33
	v_fma_f16 v32, v15, v33, -v32
	v_lshrrev_b32_e32 v15, 16, v34
	v_lshrrev_b32_e32 v33, 16, v16
	s_delay_alu instid0(VALU_DEP_3) | instskip(NEXT) | instid1(VALU_DEP_3)
	v_pack_b32_f16 v32, v32, v223
	v_mul_f16_e64 v224, v16, v15
	s_delay_alu instid0(VALU_DEP_3) | instskip(NEXT) | instid1(VALU_DEP_2)
	v_mul_f16_e32 v65, v33, v15
	v_fmac_f16_e64 v224, v33, v34
	s_delay_alu instid0(VALU_DEP_2)
	v_fma_f16 v65, v16, v34, -v65
	ds_load_2addr_b32 v[15:16], v13 offset0:88 offset1:140
	s_wait_loadcnt 0x2
	v_lshrrev_b32_e32 v33, 16, v60
	s_wait_dscnt 0x0
	v_lshrrev_b32_e32 v34, 16, v15
	s_delay_alu instid0(VALU_DEP_2) | instskip(NEXT) | instid1(VALU_DEP_2)
	v_mul_f16_e64 v225, v15, v33
	v_mul_f16_e32 v33, v34, v33
	s_delay_alu instid0(VALU_DEP_2) | instskip(SKIP_1) | instid1(VALU_DEP_3)
	v_fmac_f16_e64 v225, v34, v60
	v_lshrrev_b32_e32 v34, 16, v16
	v_fma_f16 v33, v15, v60, -v33
	s_wait_loadcnt 0x1
	v_lshrrev_b32_e32 v15, 16, v61
	s_delay_alu instid0(VALU_DEP_2) | instskip(NEXT) | instid1(VALU_DEP_2)
	v_pack_b32_f16 v33, v33, v225
	v_mul_f16_e32 v60, v34, v15
	v_mul_f16_e64 v226, v16, v15
	s_delay_alu instid0(VALU_DEP_2)
	v_fma_f16 v60, v16, v61, -v60
	ds_load_2addr_b32 v[15:16], v220 offset0:80 offset1:132
	v_fmac_f16_e64 v226, v34, v61
	v_lshrrev_b32_e32 v34, 16, v35
	s_wait_dscnt 0x0
	v_lshrrev_b32_e32 v61, 16, v15
	s_delay_alu instid0(VALU_DEP_2) | instskip(NEXT) | instid1(VALU_DEP_2)
	v_mul_f16_e64 v227, v15, v34
	v_mul_f16_e32 v34, v61, v34
	s_delay_alu instid0(VALU_DEP_2) | instskip(NEXT) | instid1(VALU_DEP_2)
	v_fmac_f16_e64 v227, v61, v35
	v_fma_f16 v34, v15, v35, -v34
	v_lshrrev_b32_e32 v15, 16, v36
	v_lshrrev_b32_e32 v35, 16, v16
	s_delay_alu instid0(VALU_DEP_2) | instskip(NEXT) | instid1(VALU_DEP_2)
	v_mul_f16_e64 v228, v16, v15
	v_mul_f16_e32 v61, v35, v15
	s_delay_alu instid0(VALU_DEP_2) | instskip(NEXT) | instid1(VALU_DEP_2)
	v_fmac_f16_e64 v228, v35, v36
	v_fma_f16 v61, v16, v36, -v61
	s_clause 0x7
	global_load_b32 v35, v30, s[0:1] offset:3328
	global_load_b32 v36, v30, s[0:1] offset:3536
	;; [unrolled: 1-line block ×8, first 2 shown]
	ds_load_2addr_b32 v[15:16], v219 offset0:64 offset1:116
	s_wait_dscnt 0x0
	v_lshrrev_b32_e32 v236, 16, v15
	s_wait_loadcnt 0x7
	v_lshrrev_b32_e32 v235, 16, v35
	s_delay_alu instid0(VALU_DEP_1) | instskip(NEXT) | instid1(VALU_DEP_3)
	v_mul_f16_e64 v237, v15, v235
	v_mul_f16_e64 v235, v236, v235
	s_delay_alu instid0(VALU_DEP_2) | instskip(NEXT) | instid1(VALU_DEP_2)
	v_fmac_f16_e64 v237, v236, v35
	v_fma_f16 v35, v15, v35, -v235
	s_wait_loadcnt 0x6
	v_lshrrev_b32_e32 v15, 16, v36
	v_lshrrev_b32_e32 v235, 16, v16
	s_delay_alu instid0(VALU_DEP_2) | instskip(NEXT) | instid1(VALU_DEP_2)
	v_mul_f16_e64 v238, v16, v15
	v_mul_f16_e64 v236, v235, v15
	s_delay_alu instid0(VALU_DEP_2) | instskip(NEXT) | instid1(VALU_DEP_2)
	v_fmac_f16_e64 v238, v235, v36
	v_fma_f16 v236, v16, v36, -v236
	ds_load_2addr_b32 v[15:16], v37 offset0:56 offset1:108
	v_lshrrev_b32_e32 v36, 16, v38
	s_wait_dscnt 0x0
	v_lshrrev_b32_e32 v235, 16, v15
	s_delay_alu instid0(VALU_DEP_2) | instskip(NEXT) | instid1(VALU_DEP_2)
	v_mul_f16_e64 v239, v15, v36
	v_mul_f16_e64 v36, v235, v36
	s_delay_alu instid0(VALU_DEP_2) | instskip(NEXT) | instid1(VALU_DEP_2)
	v_fmac_f16_e64 v239, v235, v38
	v_fma_f16 v36, v15, v38, -v36
	v_lshrrev_b32_e32 v15, 16, v53
	v_lshrrev_b32_e32 v38, 16, v16
	s_delay_alu instid0(VALU_DEP_2) | instskip(NEXT) | instid1(VALU_DEP_2)
	v_mul_f16_e64 v240, v16, v15
	v_mul_f16_e64 v235, v38, v15
	s_delay_alu instid0(VALU_DEP_2) | instskip(NEXT) | instid1(VALU_DEP_2)
	v_fmac_f16_e64 v240, v38, v53
	v_fma_f16 v235, v16, v53, -v235
	ds_load_2addr_b32 v[15:16], v219 offset0:168 offset1:220
	s_wait_loadcnt 0x5
	v_lshrrev_b32_e32 v38, 16, v229
	s_wait_dscnt 0x0
	v_lshrrev_b32_e32 v53, 16, v15
	s_delay_alu instid0(VALU_DEP_2) | instskip(NEXT) | instid1(VALU_DEP_2)
	v_mul_f16_e64 v241, v15, v38
	v_mul_f16_e32 v38, v53, v38
	s_delay_alu instid0(VALU_DEP_2) | instskip(SKIP_1) | instid1(VALU_DEP_3)
	v_fmac_f16_e64 v241, v53, v229
	v_lshrrev_b32_e32 v53, 16, v16
	v_fma_f16 v38, v15, v229, -v38
	s_wait_loadcnt 0x4
	v_lshrrev_b32_e32 v15, 16, v230
	s_delay_alu instid0(VALU_DEP_1) | instskip(SKIP_1) | instid1(VALU_DEP_2)
	v_mul_f16_e64 v229, v53, v15
	v_mul_f16_e64 v242, v16, v15
	v_fma_f16 v229, v16, v230, -v229
	s_delay_alu instid0(VALU_DEP_2)
	v_fmac_f16_e64 v242, v53, v230
	s_clause 0x2
	global_load_b32 v53, v30, s[0:1] offset:1664
	global_load_b32 v230, v30, s[0:1] offset:1872
	global_load_b32 v30, v30, s[0:1] offset:2080
	ds_load_2addr_b32 v[15:16], v37 offset0:160 offset1:212
	ds_store_2addr_b32 v83, v55, v32 offset0:52 offset1:104
	v_pack_b32_f16 v32, v68, v70
	ds_store_2addr_b32 v218, v32, v33 offset0:164 offset1:216
	v_pack_b32_f16 v32, v65, v224
	v_pack_b32_f16 v33, v34, v227
	ds_store_2addr_b32 v83, v32, v33 offset0:156 offset1:208
	v_pack_b32_f16 v32, v60, v226
	v_pack_b32_f16 v33, v35, v237
	s_wait_dscnt 0x3
	v_lshrrev_b32_e32 v244, 16, v15
	ds_store_2addr_b32 v219, v32, v33 offset0:12 offset1:64
	v_pack_b32_f16 v32, v61, v228
	v_pack_b32_f16 v33, v36, v239
	ds_store_2addr_b32 v37, v32, v33 offset0:4 offset1:56
	v_pack_b32_f16 v32, v236, v238
	v_pack_b32_f16 v33, v38, v241
	ds_store_2addr_b32 v219, v32, v33 offset0:116 offset1:168
	v_pack_b32_f16 v32, v235, v240
	s_wait_loadcnt 0x2
	v_lshrrev_b32_e32 v243, 16, v53
	s_delay_alu instid0(VALU_DEP_1) | instskip(SKIP_1) | instid1(VALU_DEP_2)
	v_mul_f16_e64 v245, v15, v243
	v_mul_f16_e64 v243, v244, v243
	v_fmac_f16_e64 v245, v244, v53
	s_delay_alu instid0(VALU_DEP_2) | instskip(SKIP_3) | instid1(VALU_DEP_3)
	v_fma_f16 v53, v15, v53, -v243
	s_wait_loadcnt 0x1
	v_lshrrev_b32_e32 v15, 16, v230
	v_lshrrev_b32_e32 v243, 16, v16
	v_pack_b32_f16 v33, v53, v245
	s_delay_alu instid0(VALU_DEP_3) | instskip(NEXT) | instid1(VALU_DEP_3)
	v_mul_f16_e64 v246, v16, v15
	v_mul_f16_e64 v244, v243, v15
	ds_store_2addr_b32 v37, v32, v33 offset0:108 offset1:160
	v_fmac_f16_e64 v246, v243, v230
	v_fma_f16 v244, v16, v230, -v244
	ds_load_2addr_b32 v[15:16], v29 offset0:16 offset1:68
	v_lshrrev_b32_e32 v230, 16, v231
	v_pack_b32_f16 v32, v229, v242
	s_wait_dscnt 0x0
	v_lshrrev_b32_e32 v243, 16, v15
	s_delay_alu instid0(VALU_DEP_3) | instskip(NEXT) | instid1(VALU_DEP_2)
	v_mul_f16_e64 v247, v15, v230
	v_mul_f16_e64 v230, v243, v230
	s_delay_alu instid0(VALU_DEP_2) | instskip(NEXT) | instid1(VALU_DEP_2)
	v_fmac_f16_e64 v247, v243, v231
	v_fma_f16 v230, v15, v231, -v230
	v_lshrrev_b32_e32 v15, 16, v232
	v_lshrrev_b32_e32 v231, 16, v16
	s_delay_alu instid0(VALU_DEP_3) | instskip(NEXT) | instid1(VALU_DEP_3)
	v_pack_b32_f16 v33, v230, v247
	v_mul_f16_e64 v248, v16, v15
	s_delay_alu instid0(VALU_DEP_3)
	v_mul_f16_e64 v243, v231, v15
	ds_store_2addr_b32 v222, v32, v33 offset0:92 offset1:144
	v_fmac_f16_e64 v248, v231, v232
	v_fma_f16 v243, v16, v232, -v243
	ds_load_2addr_b32 v[15:16], v218 offset0:8 offset1:60
	s_wait_loadcnt 0x0
	v_lshrrev_b32_e32 v231, 16, v30
	v_pack_b32_f16 v32, v244, v246
	s_wait_dscnt 0x0
	v_lshrrev_b32_e32 v232, 16, v15
	s_delay_alu instid0(VALU_DEP_3) | instskip(NEXT) | instid1(VALU_DEP_2)
	v_mul_f16_e64 v249, v15, v231
	v_mul_f16_e64 v231, v232, v231
	s_delay_alu instid0(VALU_DEP_2) | instskip(NEXT) | instid1(VALU_DEP_2)
	v_fmac_f16_e64 v249, v232, v30
	v_fma_f16 v30, v15, v30, -v231
	v_lshrrev_b32_e32 v15, 16, v64
	v_lshrrev_b32_e32 v231, 16, v16
	s_delay_alu instid0(VALU_DEP_3) | instskip(NEXT) | instid1(VALU_DEP_3)
	v_pack_b32_f16 v30, v30, v249
	v_mul_f16_e64 v250, v16, v15
	s_delay_alu instid0(VALU_DEP_3)
	v_mul_f16_e64 v232, v231, v15
	ds_store_2addr_b32 v221, v32, v30 offset0:84 offset1:136
	v_fmac_f16_e64 v250, v231, v64
	v_fma_f16 v232, v16, v64, -v232
	ds_load_2addr_b32 v[15:16], v29 offset0:120 offset1:172
	v_lshrrev_b32_e32 v64, 16, v233
	v_pack_b32_f16 v30, v243, v248
	s_wait_dscnt 0x0
	v_lshrrev_b32_e32 v231, 16, v15
	s_delay_alu instid0(VALU_DEP_3) | instskip(NEXT) | instid1(VALU_DEP_2)
	v_mul_f16_e64 v251, v15, v64
	v_mul_f16_e64 v64, v231, v64
	s_delay_alu instid0(VALU_DEP_2) | instskip(SKIP_1) | instid1(VALU_DEP_3)
	v_fmac_f16_e64 v251, v231, v233
	v_lshrrev_b32_e32 v231, 16, v16
	v_fma_f16 v15, v15, v233, -v64
	v_lshrrev_b32_e32 v64, 16, v234
	s_delay_alu instid0(VALU_DEP_2) | instskip(NEXT) | instid1(VALU_DEP_2)
	v_pack_b32_f16 v15, v15, v251
	v_mul_f16_e64 v233, v231, v64
	v_mul_f16_e32 v64, v16, v64
	ds_store_2addr_b32 v29, v30, v15 offset0:68 offset1:120
	v_fma_f16 v16, v16, v234, -v233
	v_fmac_f16_e64 v64, v231, v234
	v_pack_b32_f16 v15, v31, v69
	v_pack_b32_f16 v30, v232, v250
	ds_store_2addr_b32 v218, v30, v15 offset0:60 offset1:112
	v_pack_b32_f16 v15, v16, v64
	ds_store_b32 v83, v15 offset:4784
	global_wb scope:SCOPE_SE
	s_wait_dscnt 0x0
	s_barrier_signal -1
	s_barrier_wait -1
	global_inv scope:SCOPE_SE
	ds_load_2addr_b32 v[15:16], v83 offset1:52
	ds_load_2addr_b32 v[30:31], v218 offset0:112 offset1:164
	ds_load_2addr_b32 v[34:35], v83 offset0:104 offset1:156
	;; [unrolled: 1-line block ×11, first 2 shown]
	global_wb scope:SCOPE_SE
	s_wait_dscnt 0x0
	s_barrier_signal -1
	s_barrier_wait -1
	global_inv scope:SCOPE_SE
	v_pk_add_f16 v31, v16, v31 neg_lo:[0,1] neg_hi:[0,1]
	v_pk_add_f16 v33, v15, v30 neg_lo:[0,1] neg_hi:[0,1]
	s_delay_alu instid0(VALU_DEP_2) | instskip(SKIP_1) | instid1(VALU_DEP_3)
	v_pk_fma_f16 v30, v16, 2.0, v31 op_sel_hi:[1,0,1] neg_lo:[0,0,1] neg_hi:[0,0,1]
	v_pk_add_f16 v16, v34, v223 neg_lo:[0,1] neg_hi:[0,1]
	v_pk_fma_f16 v32, v15, 2.0, v33 op_sel_hi:[1,0,1] neg_lo:[0,0,1] neg_hi:[0,0,1]
	s_delay_alu instid0(VALU_DEP_2) | instskip(SKIP_4) | instid1(VALU_DEP_1)
	v_pk_fma_f16 v15, v34, 2.0, v16 op_sel_hi:[1,0,1] neg_lo:[0,0,1] neg_hi:[0,0,1]
	ds_store_b64 v40, v[32:33]
	ds_store_b64 v47, v[30:31]
	;; [unrolled: 1-line block ×3, first 2 shown]
	v_pk_add_f16 v16, v35, v224 neg_lo:[0,1] neg_hi:[0,1]
	v_pk_fma_f16 v15, v35, 2.0, v16 op_sel_hi:[1,0,1] neg_lo:[0,0,1] neg_hi:[0,0,1]
	ds_store_b64 v45, v[15:16]
	v_pk_add_f16 v16, v225, v227 neg_lo:[0,1] neg_hi:[0,1]
	s_delay_alu instid0(VALU_DEP_1) | instskip(SKIP_2) | instid1(VALU_DEP_1)
	v_pk_fma_f16 v15, v225, 2.0, v16 op_sel_hi:[1,0,1] neg_lo:[0,0,1] neg_hi:[0,0,1]
	ds_store_b64 v44, v[15:16]
	v_pk_add_f16 v16, v226, v228 neg_lo:[0,1] neg_hi:[0,1]
	v_pk_fma_f16 v15, v226, 2.0, v16 op_sel_hi:[1,0,1] neg_lo:[0,0,1] neg_hi:[0,0,1]
	ds_store_b64 v43, v[15:16]
	v_pk_add_f16 v16, v229, v231 neg_lo:[0,1] neg_hi:[0,1]
	s_delay_alu instid0(VALU_DEP_1) | instskip(SKIP_2) | instid1(VALU_DEP_1)
	v_pk_fma_f16 v15, v229, 2.0, v16 op_sel_hi:[1,0,1] neg_lo:[0,0,1] neg_hi:[0,0,1]
	ds_store_b64 v42, v[15:16]
	;; [unrolled: 7-line block ×4, first 2 shown]
	v_pk_add_f16 v16, v238, v240 neg_lo:[0,1] neg_hi:[0,1]
	v_pk_fma_f16 v15, v238, 2.0, v16 op_sel_hi:[1,0,1] neg_lo:[0,0,1] neg_hi:[0,0,1]
	ds_store_b64 v117, v[15:16]
	global_wb scope:SCOPE_SE
	s_wait_dscnt 0x0
	s_barrier_signal -1
	s_barrier_wait -1
	global_inv scope:SCOPE_SE
	ds_load_2addr_b32 v[15:16], v218 offset0:112 offset1:164
	s_wait_dscnt 0x0
	v_lshrrev_b32_e32 v30, 16, v15
	v_mul_f16_e32 v31, v118, v15
	s_delay_alu instid0(VALU_DEP_2) | instskip(NEXT) | instid1(VALU_DEP_2)
	v_mul_f16_e32 v33, v118, v30
	v_fma_f16 v32, v39, v30, -v31
	ds_load_2addr_b32 v[30:31], v83 offset1:52
	v_fmac_f16_e32 v33, v39, v15
	s_wait_dscnt 0x0
	v_lshrrev_b32_e32 v15, 16, v30
	s_delay_alu instid0(VALU_DEP_2) | instskip(NEXT) | instid1(VALU_DEP_2)
	v_sub_f16_e32 v33, v30, v33
	v_sub_f16_e32 v32, v15, v32
	s_delay_alu instid0(VALU_DEP_2) | instskip(NEXT) | instid1(VALU_DEP_2)
	v_fma_f16 v30, v30, 2.0, -v33
	v_fma_f16 v15, v15, 2.0, -v32
	v_pack_b32_f16 v36, v33, v32
	s_delay_alu instid0(VALU_DEP_2)
	v_pack_b32_f16 v15, v30, v15
	ds_load_2addr_b32 v[32:33], v13 offset0:88 offset1:140
	ds_load_2addr_b32 v[40:41], v29 offset0:16 offset1:68
	;; [unrolled: 1-line block ×10, first 2 shown]
	v_lshrrev_b32_e32 v13, 16, v16
	global_wb scope:SCOPE_SE
	s_wait_dscnt 0x0
	s_barrier_signal -1
	s_barrier_wait -1
	global_inv scope:SCOPE_SE
	ds_store_2addr_b32 v129, v15, v36 offset1:2
	v_mul_f16_e32 v15, v118, v13
	s_delay_alu instid0(VALU_DEP_1) | instskip(SKIP_2) | instid1(VALU_DEP_3)
	v_fmac_f16_e32 v15, v39, v16
	v_mul_f16_e32 v16, v118, v16
	v_mul_f16_e32 v38, v118, v43
	v_sub_f16_e32 v15, v31, v15
	s_delay_alu instid0(VALU_DEP_3) | instskip(SKIP_1) | instid1(VALU_DEP_3)
	v_fma_f16 v13, v39, v13, -v16
	v_lshrrev_b32_e32 v16, 16, v31
	v_fma_f16 v31, v31, 2.0, -v15
	s_delay_alu instid0(VALU_DEP_2) | instskip(NEXT) | instid1(VALU_DEP_1)
	v_sub_f16_e32 v13, v16, v13
	v_fma_f16 v16, v16, 2.0, -v13
	v_pack_b32_f16 v13, v15, v13
	s_delay_alu instid0(VALU_DEP_2) | instskip(SKIP_4) | instid1(VALU_DEP_1)
	v_pack_b32_f16 v15, v31, v16
	v_lshrrev_b32_e32 v16, 16, v29
	ds_store_2addr_b32 v128, v15, v13 offset1:2
	v_lshrrev_b32_e32 v13, 16, v32
	v_mul_f16_e32 v15, v118, v32
	v_fma_f16 v15, v39, v13, -v15
	v_mul_f16_e32 v13, v118, v13
	s_delay_alu instid0(VALU_DEP_2) | instskip(NEXT) | instid1(VALU_DEP_2)
	v_sub_f16_e32 v15, v16, v15
	v_fmac_f16_e32 v13, v39, v32
	s_delay_alu instid0(VALU_DEP_2) | instskip(NEXT) | instid1(VALU_DEP_2)
	v_fma_f16 v16, v16, 2.0, -v15
	v_sub_f16_e32 v13, v29, v13
	s_delay_alu instid0(VALU_DEP_1) | instskip(SKIP_1) | instid1(VALU_DEP_1)
	v_pack_b32_f16 v15, v13, v15
	v_fma_f16 v13, v29, 2.0, -v13
	v_pack_b32_f16 v13, v13, v16
	v_mul_f16_e32 v16, v118, v33
	ds_store_2addr_b32 v127, v13, v15 offset1:2
	v_lshrrev_b32_e32 v13, 16, v33
	s_delay_alu instid0(VALU_DEP_1) | instskip(SKIP_2) | instid1(VALU_DEP_3)
	v_mul_f16_e32 v15, v118, v13
	v_fma_f16 v13, v39, v13, -v16
	v_lshrrev_b32_e32 v16, 16, v30
	v_fmac_f16_e32 v15, v39, v33
	v_lshrrev_b32_e32 v33, 16, v224
	s_delay_alu instid0(VALU_DEP_3) | instskip(NEXT) | instid1(VALU_DEP_3)
	v_sub_f16_e32 v13, v16, v13
	v_sub_f16_e32 v15, v30, v15
	s_delay_alu instid0(VALU_DEP_2) | instskip(NEXT) | instid1(VALU_DEP_2)
	v_fma_f16 v16, v16, 2.0, -v13
	v_fma_f16 v29, v30, 2.0, -v15
	v_pack_b32_f16 v13, v15, v13
	v_lshrrev_b32_e32 v30, 16, v47
	s_delay_alu instid0(VALU_DEP_3) | instskip(SKIP_4) | instid1(VALU_DEP_1)
	v_pack_b32_f16 v15, v29, v16
	v_lshrrev_b32_e32 v16, 16, v34
	ds_store_2addr_b32 v126, v15, v13 offset1:2
	v_lshrrev_b32_e32 v13, 16, v44
	v_mul_f16_e32 v15, v118, v44
	v_fma_f16 v15, v39, v13, -v15
	v_mul_f16_e32 v13, v118, v13
	s_delay_alu instid0(VALU_DEP_2) | instskip(NEXT) | instid1(VALU_DEP_2)
	v_sub_f16_e32 v15, v16, v15
	v_fmac_f16_e32 v13, v39, v44
	s_delay_alu instid0(VALU_DEP_2) | instskip(NEXT) | instid1(VALU_DEP_2)
	v_fma_f16 v16, v16, 2.0, -v15
	v_sub_f16_e32 v13, v34, v13
	s_delay_alu instid0(VALU_DEP_1) | instskip(SKIP_1) | instid1(VALU_DEP_1)
	v_pack_b32_f16 v15, v13, v15
	v_fma_f16 v13, v34, 2.0, -v13
	v_pack_b32_f16 v13, v13, v16
	v_mul_f16_e32 v16, v118, v45
	ds_store_2addr_b32 v125, v13, v15 offset1:2
	v_lshrrev_b32_e32 v13, 16, v45
	s_delay_alu instid0(VALU_DEP_1) | instskip(SKIP_2) | instid1(VALU_DEP_3)
	v_mul_f16_e32 v15, v118, v13
	v_fma_f16 v13, v39, v13, -v16
	v_lshrrev_b32_e32 v16, 16, v35
	v_fmac_f16_e32 v15, v39, v45
	s_delay_alu instid0(VALU_DEP_2) | instskip(NEXT) | instid1(VALU_DEP_2)
	v_sub_f16_e32 v13, v16, v13
	v_sub_f16_e32 v15, v35, v15
	s_delay_alu instid0(VALU_DEP_2) | instskip(NEXT) | instid1(VALU_DEP_2)
	v_fma_f16 v16, v16, 2.0, -v13
	v_fma_f16 v29, v35, 2.0, -v15
	v_pack_b32_f16 v13, v15, v13
	s_delay_alu instid0(VALU_DEP_2)
	v_pack_b32_f16 v15, v29, v16
	v_lshrrev_b32_e32 v16, 16, v46
	v_mul_f16_e32 v29, v118, v121
	ds_store_2addr_b32 v124, v15, v13 offset1:2
	v_lshrrev_b32_e32 v13, 16, v120
	v_mul_f16_e32 v15, v118, v120
	s_delay_alu instid0(VALU_DEP_1) | instskip(SKIP_1) | instid1(VALU_DEP_2)
	v_fma_f16 v15, v39, v13, -v15
	v_mul_f16_e32 v13, v118, v13
	v_sub_f16_e32 v117, v16, v15
	s_delay_alu instid0(VALU_DEP_2) | instskip(NEXT) | instid1(VALU_DEP_2)
	v_fmac_f16_e32 v13, v39, v120
	v_fma_f16 v16, v16, 2.0, -v117
	s_delay_alu instid0(VALU_DEP_2) | instskip(NEXT) | instid1(VALU_DEP_1)
	v_sub_f16_e32 v15, v46, v13
	v_fma_f16 v13, v46, 2.0, -v15
	s_delay_alu instid0(VALU_DEP_1) | instskip(SKIP_3) | instid1(VALU_DEP_1)
	v_pack_b32_f16 v13, v13, v16
	v_pack_b32_f16 v16, v15, v117
	ds_store_2addr_b32 v123, v13, v16 offset1:2
	v_lshrrev_b32_e32 v13, 16, v121
	v_mul_f16_e32 v16, v118, v13
	v_fma_f16 v13, v39, v13, -v29
	s_delay_alu instid0(VALU_DEP_2) | instskip(NEXT) | instid1(VALU_DEP_2)
	v_fmac_f16_e32 v16, v39, v121
	v_sub_f16_e32 v122, v30, v13
	s_delay_alu instid0(VALU_DEP_2) | instskip(NEXT) | instid1(VALU_DEP_2)
	v_sub_f16_e32 v35, v47, v16
	v_fma_f16 v123, v30, 2.0, -v122
	v_lshrrev_b32_e32 v30, 16, v223
	s_delay_alu instid0(VALU_DEP_3) | instskip(SKIP_1) | instid1(VALU_DEP_2)
	v_fma_f16 v16, v47, 2.0, -v35
	v_pack_b32_f16 v13, v35, v122
	v_pack_b32_f16 v29, v16, v123
	ds_store_2addr_b32 v119, v29, v13 offset1:2
	v_lshrrev_b32_e32 v13, 16, v40
	v_mul_f16_e32 v29, v118, v40
	s_delay_alu instid0(VALU_DEP_1) | instskip(SKIP_1) | instid1(VALU_DEP_2)
	v_fma_f16 v29, v39, v13, -v29
	v_mul_f16_e32 v13, v118, v13
	v_sub_f16_e32 v121, v30, v29
	s_delay_alu instid0(VALU_DEP_2) | instskip(NEXT) | instid1(VALU_DEP_2)
	v_fmac_f16_e32 v13, v39, v40
	v_fma_f16 v124, v30, 2.0, -v121
	s_delay_alu instid0(VALU_DEP_2) | instskip(SKIP_1) | instid1(VALU_DEP_2)
	v_sub_f16_e64 v31, v223, v13
	v_mul_f16_e32 v30, v118, v41
	v_fma_f16 v36, v223, 2.0, -v31
	v_pack_b32_f16 v13, v31, v121
	s_delay_alu instid0(VALU_DEP_2) | instskip(SKIP_2) | instid1(VALU_DEP_1)
	v_pack_b32_f16 v29, v36, v124
	ds_store_2addr_b32 v116, v29, v13 offset1:2
	v_lshrrev_b32_e32 v13, 16, v41
	v_mul_f16_e32 v29, v118, v13
	v_fma_f16 v13, v39, v13, -v30
	s_delay_alu instid0(VALU_DEP_2) | instskip(NEXT) | instid1(VALU_DEP_2)
	v_fmac_f16_e32 v29, v39, v41
	v_sub_f16_e32 v116, v33, v13
	s_delay_alu instid0(VALU_DEP_2) | instskip(NEXT) | instid1(VALU_DEP_2)
	v_sub_f16_e64 v29, v224, v29
	v_fma_f16 v119, v33, 2.0, -v116
	v_lshrrev_b32_e32 v33, 16, v225
	s_delay_alu instid0(VALU_DEP_3) | instskip(SKIP_1) | instid1(VALU_DEP_2)
	v_fma_f16 v32, v224, 2.0, -v29
	v_pack_b32_f16 v13, v29, v116
	v_pack_b32_f16 v30, v32, v119
	ds_store_2addr_b32 v115, v30, v13 offset1:2
	v_lshrrev_b32_e32 v13, 16, v42
	v_mul_f16_e32 v30, v118, v42
	s_delay_alu instid0(VALU_DEP_1) | instskip(SKIP_1) | instid1(VALU_DEP_2)
	v_fma_f16 v30, v39, v13, -v30
	v_mul_f16_e32 v13, v118, v13
	v_sub_f16_e32 v120, v33, v30
	s_delay_alu instid0(VALU_DEP_2) | instskip(NEXT) | instid1(VALU_DEP_2)
	v_fmac_f16_e32 v13, v39, v42
	v_fma_f16 v115, v33, 2.0, -v120
	s_delay_alu instid0(VALU_DEP_2) | instskip(NEXT) | instid1(VALU_DEP_1)
	v_sub_f16_e64 v33, v225, v13
	v_fma_f16 v30, v225, 2.0, -v33
	v_pack_b32_f16 v13, v33, v120
	s_delay_alu instid0(VALU_DEP_2) | instskip(SKIP_2) | instid1(VALU_DEP_1)
	v_pack_b32_f16 v34, v30, v115
	ds_store_2addr_b32 v114, v34, v13 offset1:2
	v_lshrrev_b32_e32 v13, 16, v43
	v_mul_f16_e32 v34, v118, v13
	v_fma_f16 v38, v39, v13, -v38
	s_delay_alu instid0(VALU_DEP_2) | instskip(SKIP_1) | instid1(VALU_DEP_2)
	v_fmac_f16_e32 v34, v39, v43
	v_lshrrev_b32_e32 v39, 16, v226
	v_sub_f16_e64 v13, v226, v34
	s_delay_alu instid0(VALU_DEP_2) | instskip(NEXT) | instid1(VALU_DEP_2)
	v_sub_f16_e32 v118, v39, v38
	v_fma_f16 v34, v226, 2.0, -v13
	s_delay_alu instid0(VALU_DEP_2) | instskip(SKIP_1) | instid1(VALU_DEP_2)
	v_fma_f16 v114, v39, 2.0, -v118
	v_pack_b32_f16 v38, v13, v118
	v_pack_b32_f16 v39, v34, v114
	ds_store_2addr_b32 v48, v39, v38 offset1:2
	global_wb scope:SCOPE_SE
	s_wait_dscnt 0x0
	s_barrier_signal -1
	s_barrier_wait -1
	global_inv scope:SCOPE_SE
	ds_load_2addr_b32 v[45:46], v37 offset0:128 offset1:224
	ds_load_b32 v125, v83 offset:4608
	ds_load_2addr_b32 v[37:38], v83 offset1:96
	ds_load_2addr_b32 v[47:48], v220 offset0:64 offset1:160
	ds_load_2addr_b32 v[43:44], v218 offset0:64 offset1:160
	ds_load_2addr_b32 v[41:42], v219 offset1:96
	ds_load_2addr_b32 v[39:40], v222 offset0:64 offset1:160
	s_and_saveexec_b32 s0, vcc_lo
	s_cbranch_execz .LBB0_7
; %bb.6:
	ds_load_2addr_b32 v[15:16], v83 offset0:52 offset1:148
	ds_load_2addr_b32 v[35:36], v220 offset0:116 offset1:212
	;; [unrolled: 1-line block ×6, first 2 shown]
	ds_load_b32 v130, v83 offset:4816
	s_wait_dscnt 0x6
	v_lshrrev_b32_e32 v117, 16, v15
	v_lshrrev_b32_e32 v123, 16, v16
	s_wait_dscnt 0x5
	v_lshrrev_b32_e32 v122, 16, v35
	v_lshrrev_b32_e32 v124, 16, v36
	;; [unrolled: 3-line block ×6, first 2 shown]
	s_wait_dscnt 0x0
	v_lshrrev_b32_e32 v132, 16, v130
.LBB0_7:
	s_wait_alu 0xfffe
	s_or_b32 exec_lo, exec_lo, s0
	s_wait_dscnt 0x4
	v_lshrrev_b32_e32 v55, 16, v38
	s_wait_dscnt 0x3
	v_lshrrev_b32_e32 v57, 16, v47
	v_lshrrev_b32_e32 v60, 16, v48
	v_mul_f16_e64 v218, v110, v38
	v_mul_f16_e64 v220, v112, v47
	;; [unrolled: 1-line block ×5, first 2 shown]
	v_lshrrev_b32_e32 v53, 16, v37
	v_lshrrev_b32_e32 v61, 16, v45
	v_fmac_f16_e64 v128, v4, v38
	v_fma_f16 v38, v4, v55, -v218
	v_fma_f16 v55, v5, v57, -v220
	v_mul_f16_e32 v57, v111, v48
	v_lshrrev_b32_e32 v64, 16, v46
	v_fmac_f16_e64 v221, v6, v48
	v_mul_f16_e32 v48, v109, v45
	s_wait_dscnt 0x2
	v_lshrrev_b32_e32 v65, 16, v43
	v_fma_f16 v57, v6, v60, -v57
	v_mul_f16_e32 v60, v103, v46
	v_fmac_f16_e64 v219, v5, v47
	v_mul_f16_e64 v218, v109, v61
	v_mul_f16_e32 v47, v103, v64
	v_fma_f16 v61, v7, v61, -v48
	v_fma_f16 v48, v0, v64, -v60
	v_add_f16_e64 v60, v37, v128
	v_add_f16_e32 v64, v53, v38
	v_lshrrev_b32_e32 v68, 16, v44
	s_wait_dscnt 0x1
	v_lshrrev_b32_e32 v69, 16, v41
	v_fmac_f16_e64 v218, v7, v45
	v_fmac_f16_e32 v47, v0, v46
	v_mul_f16_e32 v45, v101, v65
	v_mul_f16_e32 v46, v101, v43
	v_add_f16_e64 v60, v60, v219
	v_add_f16_e32 v64, v64, v55
	v_mul_f16_e64 v220, v104, v69
	v_fmac_f16_e32 v45, v1, v43
	v_mul_f16_e32 v43, v102, v68
	v_fma_f16 v46, v1, v65, -v46
	v_mul_f16_e32 v65, v102, v44
	v_add_f16_e64 v60, v60, v221
	v_add_f16_e32 v64, v64, v57
	v_lshrrev_b32_e32 v70, 16, v42
	v_fmac_f16_e32 v43, v2, v44
	v_fma_f16 v44, v2, v68, -v65
	v_mul_f16_e32 v65, v104, v41
	v_fmac_f16_e64 v220, v3, v41
	v_add_f16_e64 v41, v60, v218
	v_add_f16_e32 v60, v64, v61
	s_wait_dscnt 0x0
	v_lshrrev_b32_e32 v126, 16, v39
	v_mul_f16_e32 v64, v105, v70
	v_fma_f16 v65, v3, v69, -v65
	v_add_f16_e32 v41, v41, v47
	v_add_f16_e32 v60, v60, v48
	v_mul_f16_e32 v68, v105, v42
	v_fmac_f16_e32 v64, v8, v42
	v_mul_f16_e32 v42, v106, v126
	v_add_f16_e32 v41, v41, v45
	v_add_f16_e32 v60, v60, v46
	v_mul_f16_e32 v69, v106, v39
	v_lshrrev_b32_e32 v127, 16, v40
	v_lshrrev_b32_e32 v129, 16, v125
	v_fmac_f16_e32 v42, v9, v39
	v_add_f16_e32 v39, v41, v43
	v_add_f16_e32 v41, v60, v44
	v_fma_f16 v60, v9, v126, -v69
	v_mul_f16_e32 v69, v107, v125
	v_fma_f16 v68, v8, v70, -v68
	v_mul_f16_e32 v70, v108, v127
	v_add_f16_e64 v39, v39, v220
	v_add_f16_e32 v41, v41, v65
	v_mul_f16_e64 v126, v107, v129
	v_fma_f16 v69, v11, v129, -v69
	v_fmac_f16_e32 v70, v10, v40
	v_mul_f16_e32 v40, v108, v40
	v_add_f16_e32 v39, v39, v64
	v_add_f16_e32 v41, v41, v68
	v_fmac_f16_e32 v126, v11, v125
	v_sub_f16_e32 v125, v38, v69
	v_fma_f16 v40, v10, v127, -v40
	v_add_f16_e32 v39, v39, v42
	v_add_f16_e32 v41, v41, v60
	v_add_f16_e64 v127, v128, v126
	v_mul_f16_e64 v129, 0xb770, v125
	v_add_f16_e64 v222, v38, v69
	v_add_f16_e32 v38, v39, v70
	v_add_f16_e32 v39, v41, v40
	v_sub_f16_e64 v41, v128, v126
	v_fma_f16 v128, 0x3b15, v127, v129
	v_sub_f16_e64 v240, v55, v40
	v_mul_f16_e64 v223, 0x3b15, v222
	v_add_f16_e32 v39, v39, v69
	v_mul_f16_e64 v224, 0x388b, v222
	v_add_f16_e64 v69, v37, v128
	v_mul_f16_e64 v128, 0xba95, v125
	v_mul_f16_e64 v227, 0xbbf1, v125
	v_mul_f16_e64 v229, 0x2fb7, v222
	v_mul_f16_e64 v230, 0xbb7b, v125
	v_mul_f16_e64 v233, 0xb5ac, v222
	v_mul_f16_e64 v235, 0xb94e, v125
	v_mul_f16_e64 v236, 0xb9fd, v222
	v_mul_f16_e32 v125, 0xb3a8, v125
	v_mul_f16_e64 v222, 0xbbc4, v222
	v_add_f16_e64 v242, v219, v70
	v_mul_f16_e64 v243, 0xba95, v240
	v_add_f16_e32 v40, v55, v40
	v_add_f16_e32 v38, v38, v126
	v_fma_f16 v126, 0x3770, v41, v223
	v_fma_f16 v129, v127, 0x3b15, -v129
	v_fmac_f16_e64 v223, 0xb770, v41
	v_fma_f16 v225, 0x388b, v127, v128
	v_fma_f16 v226, 0x3a95, v41, v224
	v_fma_f16 v128, v127, 0x388b, -v128
	v_fmac_f16_e64 v224, 0xba95, v41
	v_fma_f16 v228, 0x2fb7, v127, v227
	;; [unrolled: 4-line block ×5, first 2 shown]
	v_fma_f16 v241, 0x33a8, v41, v222
	v_fma_f16 v55, v127, 0xbbc4, -v125
	v_fmac_f16_e64 v222, 0xb3a8, v41
	v_sub_f16_e64 v41, v219, v70
	v_fma_f16 v70, 0x388b, v242, v243
	v_mul_f16_e32 v125, 0x388b, v40
	v_add_f16_e32 v126, v53, v126
	v_add_f16_e64 v129, v37, v129
	v_add_f16_e64 v223, v53, v223
	;; [unrolled: 1-line block ×20, first 2 shown]
	v_add_f16_e32 v37, v37, v55
	v_add_f16_e64 v53, v53, v222
	v_add_f16_e32 v55, v70, v69
	v_fmamk_f16 v69, v41, 0x3a95, v125
	v_mul_f16_e64 v70, 0xbb7b, v240
	v_fma_f16 v219, v242, 0x388b, -v243
	v_fmac_f16_e32 v125, 0xba95, v41
	v_mul_f16_e64 v222, 0xb5ac, v40
	v_add_f16_e32 v69, v69, v126
	v_fma_f16 v126, 0xb5ac, v242, v70
	v_add_f16_e64 v129, v219, v129
	v_add_f16_e64 v125, v125, v223
	v_fma_f16 v219, 0x3b7b, v41, v222
	v_mul_f16_e64 v223, 0xb3a8, v240
	v_fma_f16 v70, v242, 0xb5ac, -v70
	v_fmac_f16_e64 v222, 0xbb7b, v41
	v_add_f16_e64 v126, v126, v225
	v_add_f16_e64 v219, v219, v226
	v_fma_f16 v225, 0xbbc4, v242, v223
	v_mul_f16_e64 v226, 0xbbc4, v40
	v_add_f16_e64 v70, v70, v128
	v_add_f16_e64 v128, v222, v224
	v_mul_f16_e64 v222, 0x394e, v240
	v_add_f16_e64 v224, v225, v228
	v_fma_f16 v225, 0x33a8, v41, v226
	v_fma_f16 v223, v242, 0xbbc4, -v223
	v_fmac_f16_e64 v226, 0xb3a8, v41
	v_fma_f16 v228, 0xb9fd, v242, v222
	v_mul_f16_e64 v241, 0xb9fd, v40
	v_add_f16_e64 v225, v225, v231
	v_add_f16_e64 v223, v223, v227
	;; [unrolled: 1-line block ×4, first 2 shown]
	v_fma_f16 v228, 0xb94e, v41, v241
	v_mul_f16_e64 v229, 0x3bf1, v240
	v_fma_f16 v222, v242, 0xb9fd, -v222
	v_mul_f16_e64 v231, 0x2fb7, v40
	v_mul_f16_e32 v40, 0x3b15, v40
	v_add_f16_e64 v228, v228, v234
	v_fma_f16 v232, 0x2fb7, v242, v229
	v_mul_f16_e64 v234, 0x3770, v240
	v_fma_f16 v229, v242, 0x2fb7, -v229
	v_add_f16_e64 v222, v222, v230
	v_fma_f16 v230, 0xbbf1, v41, v231
	v_add_f16_e64 v232, v232, v237
	v_fmac_f16_e64 v231, 0x3bf1, v41
	v_fma_f16 v237, 0x3b15, v242, v234
	v_add_f16_e64 v229, v229, v235
	v_sub_f16_e64 v235, v57, v60
	v_add_f16_e64 v230, v230, v238
	v_add_f16_e64 v231, v231, v236
	;; [unrolled: 1-line block ×4, first 2 shown]
	v_mul_f16_e64 v239, 0xbbf1, v235
	v_add_f16_e32 v57, v57, v60
	v_fmac_f16_e64 v241, 0x394e, v41
	v_fma_f16 v237, 0xb770, v41, v40
	v_fma_f16 v60, v242, 0x3b15, -v234
	v_fmac_f16_e32 v40, 0x3770, v41
	v_sub_f16_e64 v41, v221, v42
	v_fma_f16 v42, 0x2fb7, v238, v239
	v_mul_f16_e64 v221, 0x2fb7, v57
	v_add_f16_e32 v37, v60, v37
	v_add_f16_e32 v40, v40, v53
	v_fma_f16 v60, v238, 0x2fb7, -v239
	v_add_f16_e32 v42, v42, v55
	v_fma_f16 v53, 0x3bf1, v41, v221
	v_mul_f16_e64 v55, 0xb3a8, v235
	v_fmac_f16_e64 v221, 0xbbf1, v41
	v_mul_f16_e64 v234, 0xbbc4, v57
	v_add_f16_e64 v60, v60, v129
	v_add_f16_e32 v53, v53, v69
	v_fma_f16 v69, 0xbbc4, v238, v55
	v_add_f16_e64 v125, v221, v125
	v_fma_f16 v129, 0x33a8, v41, v234
	v_mul_f16_e64 v221, 0x3b7b, v235
	v_add_f16_e64 v127, v237, v127
	v_add_f16_e32 v69, v69, v126
	v_fma_f16 v55, v238, 0xbbc4, -v55
	v_add_f16_e64 v126, v129, v219
	v_fma_f16 v129, 0xb5ac, v238, v221
	v_mul_f16_e64 v219, 0xb5ac, v57
	v_fmac_f16_e64 v234, 0xb3a8, v41
	v_mul_f16_e64 v237, 0x3b15, v57
	v_add_f16_e32 v55, v55, v70
	v_add_f16_e64 v129, v129, v224
	v_fma_f16 v224, 0xbb7b, v41, v219
	v_fmac_f16_e64 v219, 0x3b7b, v41
	v_add_f16_e64 v70, v234, v128
	v_mul_f16_e64 v128, 0x3770, v235
	v_fma_f16 v221, v238, 0xb5ac, -v221
	v_add_f16_e64 v224, v224, v225
	v_add_f16_e64 v219, v219, v226
	v_fma_f16 v225, 0xb770, v41, v237
	v_mul_f16_e64 v226, 0xba95, v235
	v_fma_f16 v234, 0x3b15, v238, v128
	v_add_f16_e64 v221, v221, v223
	v_fma_f16 v128, v238, 0x3b15, -v128
	v_add_f16_e64 v225, v225, v228
	v_fma_f16 v228, 0x388b, v238, v226
	v_fma_f16 v226, v238, 0x388b, -v226
	v_add_f16_e64 v223, v234, v227
	v_mul_f16_e64 v227, 0x388b, v57
	v_add_f16_e64 v128, v128, v222
	v_mul_f16_e64 v234, 0xb94e, v235
	v_add_f16_e64 v226, v226, v229
	v_sub_f16_e64 v229, v61, v68
	v_fma_f16 v222, 0x3a95, v41, v227
	v_add_f16_e64 v228, v228, v232
	v_fmac_f16_e64 v227, 0xba95, v41
	v_mul_f16_e32 v57, 0xb9fd, v57
	v_add_f16_e64 v232, v218, v64
	v_mul_f16_e64 v235, 0xbb7b, v229
	v_add_f16_e32 v61, v61, v68
	v_fmac_f16_e64 v237, 0x3770, v41
	v_add_f16_e64 v227, v227, v231
	v_fma_f16 v231, 0x394e, v41, v57
	v_fma_f16 v68, v238, 0xb9fd, -v234
	v_fmac_f16_e32 v57, 0xb94e, v41
	v_sub_f16_e64 v41, v218, v64
	v_fma_f16 v64, 0xb5ac, v232, v235
	v_mul_f16_e64 v218, 0xb5ac, v61
	v_add_f16_e64 v127, v231, v127
	v_add_f16_e32 v37, v68, v37
	v_add_f16_e32 v40, v57, v40
	;; [unrolled: 1-line block ×3, first 2 shown]
	v_fma_f16 v57, 0x3b7b, v41, v218
	v_mul_f16_e64 v64, 0x394e, v229
	v_fma_f16 v68, v232, 0xb5ac, -v235
	v_fmac_f16_e64 v218, 0xbb7b, v41
	v_mul_f16_e64 v231, 0xb9fd, v61
	v_add_f16_e32 v53, v57, v53
	v_fma_f16 v57, 0xb9fd, v232, v64
	v_add_f16_e32 v60, v68, v60
	v_add_f16_e64 v68, v218, v125
	v_fma_f16 v125, 0xb94e, v41, v231
	v_mul_f16_e64 v218, 0x3770, v229
	v_fma_f16 v64, v232, 0xb9fd, -v64
	v_fmac_f16_e64 v231, 0x394e, v41
	v_add_f16_e32 v57, v57, v69
	v_add_f16_e32 v69, v125, v126
	v_fma_f16 v125, 0x3b15, v232, v218
	v_mul_f16_e32 v126, 0x3b15, v61
	v_add_f16_e32 v55, v64, v55
	v_add_f16_e64 v64, v231, v70
	v_mul_f16_e64 v70, 0xbbf1, v229
	v_add_f16_e64 v222, v222, v230
	v_fma_f16 v230, 0xb9fd, v238, v234
	v_add_f16_e64 v125, v125, v129
	v_fma_f16 v129, 0xb770, v41, v126
	v_fma_f16 v218, v232, 0x3b15, -v218
	v_fmac_f16_e32 v126, 0x3770, v41
	v_fma_f16 v231, 0x2fb7, v232, v70
	v_mul_f16_e64 v234, 0x2fb7, v61
	v_add_f16_e64 v129, v129, v224
	v_add_f16_e64 v218, v218, v221
	;; [unrolled: 1-line block ×4, first 2 shown]
	v_fma_f16 v221, 0x3bf1, v41, v234
	v_mul_f16_e64 v223, 0x33a8, v229
	v_fma_f16 v70, v232, 0x2fb7, -v70
	v_mul_f16_e64 v224, 0xbbc4, v61
	v_mul_f16_e64 v229, 0x3a95, v229
	v_add_f16_e64 v221, v221, v225
	v_fma_f16 v225, 0xbbc4, v232, v223
	v_add_f16_e64 v70, v70, v128
	v_fma_f16 v128, 0xb3a8, v41, v224
	v_fma_f16 v223, v232, 0xbbc4, -v223
	v_add_f16_e64 v230, v230, v236
	v_add_f16_e64 v225, v225, v228
	v_fmac_f16_e64 v224, 0x33a8, v41
	v_add_f16_e64 v128, v128, v222
	v_fma_f16 v222, 0x388b, v232, v229
	v_add_f16_e64 v223, v223, v226
	v_sub_f16_e64 v226, v48, v65
	v_mul_f16_e32 v61, 0x388b, v61
	v_add_f16_e64 v228, v47, v220
	v_add_f16_e64 v222, v222, v230
	v_add_f16_e32 v48, v48, v65
	v_mul_f16_e64 v230, 0xb94e, v226
	v_fmac_f16_e64 v234, 0xbbf1, v41
	v_add_f16_e64 v224, v224, v227
	v_fma_f16 v227, 0xba95, v41, v61
	v_fmac_f16_e32 v61, 0x3a95, v41
	v_sub_f16_e64 v41, v47, v220
	v_fma_f16 v47, 0xb9fd, v228, v230
	v_mul_f16_e64 v220, 0xb9fd, v48
	v_fma_f16 v65, v232, 0x388b, -v229
	v_add_f16_e32 v40, v61, v40
	v_mul_f16_e64 v61, 0x3bf1, v226
	v_add_f16_e32 v42, v47, v42
	v_fma_f16 v47, 0x394e, v41, v220
	v_add_f16_e64 v127, v227, v127
	v_add_f16_e32 v37, v65, v37
	v_fma_f16 v65, v228, 0xb9fd, -v230
	v_fmac_f16_e64 v220, 0xb94e, v41
	v_mul_f16_e64 v227, 0x2fb7, v48
	v_add_f16_e32 v47, v47, v53
	v_fma_f16 v53, 0x2fb7, v228, v61
	v_add_f16_e32 v60, v65, v60
	v_add_f16_e64 v65, v220, v68
	v_fma_f16 v68, 0xbbf1, v41, v227
	v_mul_f16_e64 v220, 0xba95, v226
	v_add_f16_e32 v53, v53, v57
	v_fma_f16 v57, v228, 0x2fb7, -v61
	v_fmac_f16_e64 v227, 0x3bf1, v41
	v_add_f16_e32 v61, v68, v69
	v_fma_f16 v68, 0x388b, v228, v220
	v_mul_f16_e32 v69, 0x388b, v48
	v_add_f16_e32 v55, v57, v55
	v_add_f16_e64 v57, v227, v64
	v_mul_f16_e64 v64, 0x33a8, v226
	v_add_f16_e32 v68, v68, v125
	v_fmamk_f16 v125, v41, 0x3a95, v69
	v_fma_f16 v220, v228, 0x388b, -v220
	v_fmac_f16_e32 v69, 0xba95, v41
	v_fma_f16 v227, 0xbbc4, v228, v64
	v_mul_f16_e64 v229, 0xbbc4, v48
	v_add_f16_e64 v125, v125, v129
	v_add_f16_e64 v129, v220, v218
	v_add_f16_e32 v69, v69, v126
	v_add_f16_e64 v126, v227, v219
	v_fma_f16 v218, 0xb3a8, v41, v229
	v_mul_f16_e64 v219, 0x3770, v226
	v_fma_f16 v64, v228, 0xbbc4, -v64
	v_mul_f16_e64 v220, 0x3b15, v48
	v_mul_f16_e64 v226, 0xbb7b, v226
	v_add_f16_e64 v218, v218, v221
	v_fma_f16 v221, 0x3b15, v228, v219
	v_fma_f16 v219, v228, 0x3b15, -v219
	v_add_f16_e32 v64, v64, v70
	v_fma_f16 v70, 0xb770, v41, v220
	v_fmac_f16_e64 v220, 0x3770, v41
	v_add_f16_e64 v221, v221, v225
	v_add_f16_e64 v219, v219, v223
	v_sub_f16_e64 v223, v46, v44
	v_add_f16_e64 v70, v70, v128
	v_fma_f16 v128, 0xb5ac, v228, v226
	v_mul_f16_e32 v48, 0xb5ac, v48
	v_add_f16_e64 v220, v220, v224
	v_add_f16_e64 v224, v45, v43
	v_mul_f16_e64 v225, 0xb3a8, v223
	v_add_f16_e32 v44, v46, v44
	v_fmac_f16_e64 v229, 0x33a8, v41
	v_add_f16_e64 v128, v128, v222
	v_fma_f16 v222, 0x3b7b, v41, v48
	v_fma_f16 v46, v228, 0xb5ac, -v226
	v_fmac_f16_e32 v48, 0xbb7b, v41
	v_sub_f16_e32 v41, v45, v43
	v_fma_f16 v43, 0xbbc4, v224, v225
	v_mul_f16_e32 v45, 0xbbc4, v44
	v_add_f16_e64 v127, v222, v127
	v_add_f16_e32 v37, v46, v37
	v_add_f16_e32 v40, v48, v40
	;; [unrolled: 1-line block ×3, first 2 shown]
	v_fmamk_f16 v43, v41, 0x33a8, v45
	v_mul_f16_e64 v46, 0x3770, v223
	v_fma_f16 v48, v224, 0xbbc4, -v225
	v_fmac_f16_e32 v45, 0xb3a8, v41
	v_mul_f16_e64 v222, 0x3b15, v44
	v_add_f16_e32 v43, v43, v47
	v_fma_f16 v47, 0x3b15, v224, v46
	v_add_f16_e32 v48, v48, v60
	v_add_f16_e32 v45, v45, v65
	v_fma_f16 v60, 0xb770, v41, v222
	v_mul_f16_e64 v65, 0xb94e, v223
	v_fma_f16 v46, v224, 0x3b15, -v46
	v_fmac_f16_e64 v222, 0x3770, v41
	v_add_f16_e32 v47, v47, v53
	v_add_f16_e32 v53, v60, v61
	v_fma_f16 v60, 0xb9fd, v224, v65
	v_mul_f16_e32 v61, 0xb9fd, v44
	v_add_f16_e32 v46, v46, v55
	v_add_f16_e64 v55, v222, v57
	v_mul_f16_e64 v57, 0x3a95, v223
	v_add_f16_e32 v60, v60, v68
	v_fmamk_f16 v68, v41, 0x394e, v61
	v_fmac_f16_e32 v61, 0xb94e, v41
	v_mul_f16_e64 v225, 0x388b, v44
	v_fma_f16 v222, 0x388b, v224, v57
	v_fma_f16 v65, v224, 0xb9fd, -v65
	v_add_f16_e32 v68, v68, v125
	v_add_f16_e32 v61, v61, v69
	v_fma_f16 v125, 0xba95, v41, v225
	v_add_f16_e64 v69, v222, v126
	v_mul_f16_e64 v126, 0xbb7b, v223
	v_add_f16_e64 v233, v241, v233
	v_add_f16_e64 v65, v65, v129
	v_mul_f16_e64 v129, 0xb5ac, v44
	v_add_f16_e64 v125, v125, v218
	v_fma_f16 v218, 0xb5ac, v224, v126
	v_add_f16_e64 v233, v237, v233
	v_fma_f16 v126, v224, 0xb5ac, -v126
	v_fma_f16 v222, 0x3b7b, v41, v129
	v_mul_f16_e32 v44, 0x2fb7, v44
	v_add_f16_e64 v218, v218, v221
	v_mul_f16_e64 v221, 0x3bf1, v223
	v_add_f16_e64 v231, v234, v233
	v_add_f16_e64 v70, v222, v70
	;; [unrolled: 1-line block ×3, first 2 shown]
	v_fma_f16 v222, 0xbbf1, v41, v44
	v_fma_f16 v219, 0x2fb7, v224, v221
	v_fma_f16 v221, v224, 0x2fb7, -v221
	v_fmac_f16_e32 v44, 0x3bf1, v41
	v_add_f16_e64 v227, v229, v231
	v_fma_f16 v57, v224, 0x388b, -v57
	v_fmac_f16_e64 v225, 0x3a95, v41
	v_fmac_f16_e64 v129, 0xbb7b, v41
	v_pack_b32_f16 v38, v38, v39
	v_pack_b32_f16 v39, v42, v43
	v_add_f16_e64 v128, v219, v128
	v_add_f16_e64 v127, v222, v127
	;; [unrolled: 1-line block ×3, first 2 shown]
	v_add_f16_e32 v40, v44, v40
	v_pack_b32_f16 v42, v47, v53
	v_pack_b32_f16 v43, v60, v68
	v_add_f16_e32 v57, v57, v64
	v_add_f16_e64 v64, v225, v227
	v_add_f16_e64 v41, v129, v220
	global_wb scope:SCOPE_SE
	s_barrier_signal -1
	s_barrier_wait -1
	global_inv scope:SCOPE_SE
	ds_store_2addr_b32 v133, v38, v39 offset1:4
	ds_store_2addr_b32 v133, v42, v43 offset0:8 offset1:12
	v_pack_b32_f16 v38, v69, v125
	v_pack_b32_f16 v39, v218, v70
	;; [unrolled: 1-line block ×9, first 2 shown]
	ds_store_2addr_b32 v133, v38, v39 offset0:16 offset1:20
	ds_store_2addr_b32 v133, v42, v37 offset0:24 offset1:28
	;; [unrolled: 1-line block ×4, first 2 shown]
	ds_store_b32 v133, v45 offset:192
	s_and_saveexec_b32 s0, vcc_lo
	s_cbranch_execz .LBB0_9
; %bb.8:
	v_mul_f16_e32 v37, v112, v122
	v_mul_f16_e32 v39, v112, v35
	;; [unrolled: 1-line block ×5, first 2 shown]
	v_fmac_f16_e32 v37, v5, v35
	v_mul_f16_e32 v35, v110, v16
	v_fmac_f16_e32 v38, v6, v36
	v_fma_f16 v36, v5, v122, -v39
	v_mul_f16_e32 v5, v109, v31
	v_fma_f16 v39, v6, v124, -v40
	v_mul_f16_e32 v40, v109, v121
	v_fma_f16 v35, v4, v123, -v35
	v_fmac_f16_e32 v42, v4, v16
	v_fma_f16 v41, v7, v121, -v5
	v_mul_f16_e64 v5, v108, v131
	v_fmac_f16_e32 v40, v7, v31
	v_mul_f16_e32 v7, v108, v14
	v_mul_f16_e64 v6, v107, v132
	v_mul_f16_e64 v4, v107, v130
	v_fmac_f16_e32 v5, v10, v14
	v_mul_f16_e32 v14, v106, v118
	v_fma_f16 v7, v10, v131, -v7
	v_fmac_f16_e64 v6, v11, v130
	v_fma_f16 v4, v11, v132, -v4
	v_mul_f16_e32 v10, v105, v34
	v_fmac_f16_e32 v14, v9, v13
	v_mul_f16_e32 v13, v106, v13
	v_mul_f16_e32 v11, v105, v114
	;; [unrolled: 1-line block ×3, first 2 shown]
	v_fma_f16 v10, v8, v114, -v10
	v_mul_f16_e32 v31, v102, v115
	v_fma_f16 v9, v9, v118, -v13
	v_mul_f16_e32 v13, v104, v120
	v_fmac_f16_e32 v11, v8, v34
	v_mul_f16_e32 v8, v103, v119
	v_mul_f16_e32 v34, v104, v33
	v_fmac_f16_e32 v16, v1, v29
	v_fmac_f16_e32 v13, v3, v33
	v_sub_f16_e32 v33, v35, v4
	v_fmac_f16_e32 v8, v0, v32
	v_mul_f16_e32 v32, v103, v32
	v_mul_f16_e32 v44, v101, v29
	v_add_f16_e32 v29, v6, v42
	v_mul_f16_e32 v46, 0xbbf1, v33
	v_fmac_f16_e32 v31, v2, v30
	v_mul_f16_e32 v43, v102, v30
	v_fma_f16 v3, v3, v120, -v34
	v_fma_f16 v0, v0, v119, -v32
	v_mul_f16_e32 v30, 0xbb7b, v33
	v_mul_f16_e32 v32, 0xb94e, v33
	;; [unrolled: 1-line block ×5, first 2 shown]
	v_fma_f16 v48, v29, 0x2fb7, -v46
	v_fma_f16 v2, v2, v115, -v43
	;; [unrolled: 1-line block ×6, first 2 shown]
	v_fmac_f16_e32 v34, 0xbbc4, v29
	v_fmac_f16_e32 v32, 0xb9fd, v29
	;; [unrolled: 1-line block ×4, first 2 shown]
	v_fmamk_f16 v53, v29, 0x388b, v47
	v_fma_f16 v47, v29, 0x388b, -v47
	v_fmamk_f16 v55, v29, 0x3b15, v33
	v_fma_f16 v29, v29, 0x3b15, -v33
	v_add_f16_e32 v33, v15, v48
	v_sub_f16_e32 v48, v42, v6
	v_add_f16_e32 v57, v4, v35
	v_sub_f16_e32 v61, v37, v5
	v_add_f16_e32 v43, v15, v43
	v_add_f16_e32 v44, v15, v44
	v_mul_f16_e32 v60, 0xbbf1, v48
	v_add_f16_e32 v45, v15, v45
	v_add_f16_e32 v34, v15, v34
	v_add_f16_e32 v32, v15, v32
	v_add_f16_e32 v30, v15, v30
	v_add_f16_e32 v46, v15, v46
	v_add_f16_e32 v53, v15, v53
	v_add_f16_e32 v55, v15, v55
	v_add_f16_e32 v47, v15, v47
	v_add_f16_e32 v29, v15, v29
	v_add_f16_e32 v15, v15, v42
	v_fmamk_f16 v42, v57, 0x2fb7, v60
	v_mul_f16_e32 v64, 0xb3a8, v61
	v_add_f16_e32 v65, v7, v36
	v_add_f16_e32 v70, v9, v39
	;; [unrolled: 1-line block ×5, first 2 shown]
	v_fmamk_f16 v68, v65, 0xbbc4, v64
	v_add_f16_e32 v108, v5, v37
	v_add_f16_e32 v111, v14, v38
	;; [unrolled: 1-line block ×5, first 2 shown]
	v_sub_f16_e32 v68, v38, v14
	v_add_f16_e32 v122, v13, v8
	v_mul_f16_e32 v126, 0x394e, v61
	v_add_f16_e64 v130, v31, v16
	v_mul_f16_e64 v223, 0x3bf1, v61
	v_mul_f16_e32 v69, 0x3b7b, v68
	v_fma_f16 v60, v57, 0x2fb7, -v60
	v_fmamk_f16 v127, v65, 0xb9fd, v126
	v_fma_f16 v64, v65, 0xbbc4, -v64
	v_fma_f16 v224, 0x2fb7, v65, v223
	v_fmamk_f16 v101, v70, 0xb5ac, v69
	v_add_f16_e32 v60, v117, v60
	v_fma_f16 v69, v70, 0xb5ac, -v69
	v_fma_f16 v126, v65, 0xb9fd, -v126
	v_mul_f16_e64 v235, 0x3770, v61
	v_add_f16_e32 v42, v101, v42
	v_sub_f16_e32 v101, v40, v11
	v_add_f16_e32 v60, v64, v60
	v_add_f16_e32 v15, v37, v15
	v_fma_f16 v236, 0x3b15, v65, v235
	v_add_f16_e32 v35, v35, v117
	v_mul_f16_e32 v102, 0x3770, v101
	v_add_f16_e32 v60, v69, v60
	v_add_f16_e32 v15, v38, v15
	v_fma_f16 v235, v65, 0x3b15, -v235
	v_add_f16_e32 v35, v36, v35
	v_fmamk_f16 v104, v103, 0x3b15, v102
	v_fma_f16 v69, v103, 0x3b15, -v102
	v_add_f16_e32 v15, v40, v15
	v_fma_f16 v223, v65, 0x2fb7, -v223
	v_add_f16_e32 v35, v39, v35
	v_add_f16_e32 v42, v104, v42
	v_sub_f16_e32 v104, v8, v13
	v_add_f16_e32 v60, v69, v60
	v_add_f16_e32 v8, v8, v15
	;; [unrolled: 1-line block ×3, first 2 shown]
	v_mul_f16_e32 v37, 0x2fb7, v70
	v_mul_f16_e32 v105, 0xba95, v104
	s_delay_alu instid0(VALU_DEP_4) | instskip(NEXT) | instid1(VALU_DEP_2)
	v_add_f16_e32 v8, v16, v8
	v_fmamk_f16 v107, v106, 0x388b, v105
	v_fma_f16 v69, v106, 0x388b, -v105
	v_mul_f16_e32 v105, 0xb5ac, v65
	v_mul_f16_e32 v65, 0x388b, v65
	v_add_f16_e32 v8, v31, v8
	v_add_f16_e32 v42, v107, v42
	v_sub_f16_e32 v107, v36, v7
	v_add_f16_e32 v60, v69, v60
	v_mul_f16_e32 v36, 0xb5ac, v103
	v_add_f16_e32 v8, v13, v8
	s_delay_alu instid0(VALU_DEP_4) | instskip(SKIP_1) | instid1(VALU_DEP_4)
	v_mul_f16_e32 v109, 0xb3a8, v107
	v_mul_f16_e32 v35, 0xba95, v107
	v_fmamk_f16 v38, v101, 0x3b7b, v36
	s_delay_alu instid0(VALU_DEP_4) | instskip(SKIP_3) | instid1(VALU_DEP_4)
	v_add_f16_e32 v8, v11, v8
	v_fmac_f16_e32 v36, 0xbb7b, v101
	v_fma_f16 v110, v108, 0xbbc4, -v109
	v_fmac_f16_e32 v109, 0xbbc4, v108
	v_add_f16_e32 v8, v14, v8
	s_delay_alu instid0(VALU_DEP_3) | instskip(SKIP_1) | instid1(VALU_DEP_4)
	v_add_f16_e32 v33, v110, v33
	v_sub_f16_e32 v110, v39, v9
	v_add_f16_e32 v46, v109, v46
	v_fmamk_f16 v109, v61, 0x3b7b, v105
	v_mul_f16_e32 v39, 0xb9fd, v106
	v_fmac_f16_e32 v105, 0xbb7b, v61
	v_mul_f16_e32 v112, 0x3b7b, v110
	v_add_f16_e32 v5, v5, v8
	s_delay_alu instid0(VALU_DEP_4) | instskip(SKIP_1) | instid1(VALU_DEP_4)
	v_fmamk_f16 v40, v104, 0x394e, v39
	v_fmac_f16_e32 v39, 0xb94e, v104
	v_fma_f16 v114, v111, 0xb5ac, -v112
	v_fmac_f16_e32 v112, 0xb5ac, v111
	v_add_f16_e32 v5, v6, v5
	s_delay_alu instid0(VALU_DEP_3) | instskip(SKIP_1) | instid1(VALU_DEP_4)
	v_add_f16_e32 v33, v114, v33
	v_sub_f16_e32 v114, v41, v10
	v_add_f16_e32 v46, v112, v46
	s_delay_alu instid0(VALU_DEP_2) | instskip(NEXT) | instid1(VALU_DEP_1)
	v_mul_f16_e32 v116, 0x3770, v114
	v_fma_f16 v118, v115, 0x3b15, -v116
	v_fmac_f16_e32 v116, 0x3b15, v115
	s_delay_alu instid0(VALU_DEP_2) | instskip(SKIP_1) | instid1(VALU_DEP_3)
	v_add_f16_e32 v33, v118, v33
	v_sub_f16_e32 v118, v16, v31
	v_add_f16_e32 v46, v116, v46
	s_delay_alu instid0(VALU_DEP_2) | instskip(NEXT) | instid1(VALU_DEP_1)
	v_mul_f16_e32 v119, 0xb94e, v118
	v_fmamk_f16 v121, v120, 0xb9fd, v119
	v_fma_f16 v69, v120, 0xb9fd, -v119
	s_delay_alu instid0(VALU_DEP_2) | instskip(SKIP_1) | instid1(VALU_DEP_3)
	v_add_f16_e32 v42, v121, v42
	v_sub_f16_e32 v121, v0, v3
	v_add_f16_e32 v60, v69, v60
	v_mul_f16_e32 v69, 0x388b, v57
	v_add_f16_e32 v0, v0, v15
	v_mul_f16_e32 v15, 0xbbf1, v110
	v_mul_f16_e32 v123, 0xba95, v121
	s_delay_alu instid0(VALU_DEP_4) | instskip(NEXT) | instid1(VALU_DEP_4)
	v_fmamk_f16 v102, v48, 0x3a95, v69
	v_add_f16_e32 v0, v1, v0
	v_fmac_f16_e32 v69, 0xba95, v48
	s_delay_alu instid0(VALU_DEP_4)
	v_fma_f16 v124, v122, 0x388b, -v123
	v_fmac_f16_e32 v123, 0x388b, v122
	v_add_f16_e32 v102, v117, v102
	v_add_f16_e32 v0, v2, v0
	v_fmamk_f16 v16, v111, 0x2fb7, v15
	v_add_f16_e32 v33, v124, v33
	v_mul_f16_e32 v124, 0xbb7b, v48
	v_add_f16_e32 v102, v109, v102
	v_mul_f16_e32 v109, 0xbbc4, v70
	v_add_f16_e32 v46, v123, v46
	v_add_f16_e32 v0, v3, v0
	v_fmamk_f16 v125, v57, 0xb5ac, v124
	v_fma_f16 v124, v57, 0xb5ac, -v124
	v_fmamk_f16 v112, v68, 0x33a8, v109
	v_fmac_f16_e32 v109, 0xb3a8, v68
	v_add_f16_e32 v0, v10, v0
	v_add_f16_e32 v125, v117, v125
	;; [unrolled: 1-line block ×4, first 2 shown]
	v_mul_f16_e32 v112, 0xb9fd, v103
	v_add_f16_e32 v10, v117, v69
	v_add_f16_e32 v125, v127, v125
	v_mul_f16_e32 v127, 0x3770, v68
	v_add_f16_e32 v124, v126, v124
	v_fmamk_f16 v116, v101, 0xb94e, v112
	v_add_f16_e32 v10, v105, v10
	v_add_f16_e32 v0, v9, v0
	v_fma_f16 v128, 0x3b15, v70, v127
	v_fma_f16 v126, v70, 0x3b15, -v127
	v_add_f16_e32 v102, v116, v102
	v_mul_f16_e32 v116, 0xbb7b, v107
	v_add_f16_e32 v8, v109, v10
	v_add_f16_e64 v125, v128, v125
	v_mul_f16_e64 v128, 0xbbf1, v101
	v_add_f16_e32 v124, v126, v124
	v_fmamk_f16 v119, v108, 0xb5ac, v116
	v_add_f16_e32 v0, v7, v0
	v_fmac_f16_e32 v112, 0x394e, v101
	v_fma_f16 v129, 0x2fb7, v103, v128
	v_fma_f16 v126, v103, 0x2fb7, -v128
	v_add_f16_e32 v53, v119, v53
	v_mul_f16_e32 v119, 0x2fb7, v106
	v_fma_f16 v128, 0x3a95, v61, v65
	v_add_f16_e64 v125, v129, v125
	v_sub_f16_e64 v129, v1, v2
	v_add_f16_e32 v124, v126, v124
	v_fmamk_f16 v123, v104, 0xbbf1, v119
	v_fma_f16 v7, v108, 0xb5ac, -v116
	v_mul_f16_e32 v2, 0xbb7b, v114
	v_mul_f16_e64 v131, 0xb94e, v129
	v_add_f16_e32 v6, v112, v8
	v_add_f16_e32 v102, v123, v102
	v_mul_f16_e32 v123, 0xb3a8, v110
	v_add_f16_e32 v7, v7, v47
	v_fma_f16 v132, v130, 0xb9fd, -v131
	v_fmac_f16_e32 v119, 0x3bf1, v104
	v_fmamk_f16 v13, v115, 0xb5ac, v2
	v_fma_f16 v8, v111, 0xbbc4, -v123
	v_mul_f16_e32 v3, 0xb94e, v121
	v_add_f16_e64 v33, v132, v33
	v_mul_f16_e64 v132, 0x33a8, v104
	v_fmac_f16_e64 v131, 0xb9fd, v130
	v_add_f16_e32 v0, v4, v0
	v_add_f16_e32 v4, v119, v6
	v_fmac_f16_e32 v65, 0xba95, v61
	v_fma_f16 v133, 0xbbc4, v106, v132
	v_fma_f16 v126, v106, 0xbbc4, -v132
	v_add_f16_e32 v7, v8, v7
	v_fma_f16 v8, v108, 0x388b, -v35
	v_fmamk_f16 v11, v122, 0xb9fd, v3
	v_add_f16_e64 v125, v133, v125
	v_mul_f16_e64 v133, 0x394e, v107
	v_add_f16_e32 v124, v126, v124
	v_add_f16_e64 v46, v131, v46
	v_add_f16_e32 v8, v8, v29
	v_mul_f16_e32 v1, 0xbbc4, v120
	v_fma_f16 v218, v108, 0xb9fd, -v133
	v_fmac_f16_e64 v133, 0xb9fd, v108
	v_fma_f16 v2, v115, 0xb5ac, -v2
	v_fma_f16 v3, v122, 0xb9fd, -v3
	v_fmamk_f16 v31, v118, 0x33a8, v1
	v_add_f16_e64 v43, v218, v43
	v_mul_f16_e64 v218, 0x3770, v110
	v_add_f16_e64 v30, v133, v30
	v_fmac_f16_e32 v1, 0xb3a8, v118
	v_pack_b32_f16 v0, v5, v0
	s_delay_alu instid0(VALU_DEP_4) | instskip(SKIP_1) | instid1(VALU_DEP_2)
	v_fma_f16 v219, v111, 0x3b15, -v218
	v_fmac_f16_e64 v218, 0x3b15, v111
	v_add_f16_e64 v43, v219, v43
	v_mul_f16_e64 v219, 0xbbf1, v114
	s_delay_alu instid0(VALU_DEP_3) | instskip(NEXT) | instid1(VALU_DEP_2)
	v_add_f16_e64 v30, v218, v30
	v_fma_f16 v220, v115, 0x2fb7, -v219
	v_fmac_f16_e64 v219, 0x2fb7, v115
	s_delay_alu instid0(VALU_DEP_2) | instskip(SKIP_1) | instid1(VALU_DEP_3)
	v_add_f16_e64 v43, v220, v43
	v_mul_f16_e64 v220, 0x3a95, v118
	v_add_f16_e64 v30, v219, v30
	s_delay_alu instid0(VALU_DEP_2) | instskip(SKIP_1) | instid1(VALU_DEP_2)
	v_fma_f16 v221, 0x388b, v120, v220
	v_fma_f16 v64, v120, 0x388b, -v220
	v_add_f16_e64 v125, v221, v125
	v_mul_f16_e64 v221, 0xb94e, v48
	s_delay_alu instid0(VALU_DEP_3) | instskip(SKIP_1) | instid1(VALU_DEP_3)
	v_add_f16_e32 v64, v64, v124
	v_fmamk_f16 v124, v111, 0xbbc4, v123
	v_fma_f16 v222, 0xb9fd, v57, v221
	v_fma_f16 v221, v57, 0xb9fd, -v221
	s_delay_alu instid0(VALU_DEP_3) | instskip(SKIP_1) | instid1(VALU_DEP_4)
	v_add_f16_e32 v53, v124, v53
	v_mul_f16_e32 v124, 0x394e, v114
	v_add_f16_e64 v222, v117, v222
	s_delay_alu instid0(VALU_DEP_4) | instskip(NEXT) | instid1(VALU_DEP_3)
	v_add_f16_e64 v221, v117, v221
	v_fmamk_f16 v126, v115, 0xb9fd, v124
	v_fma_f16 v9, v115, 0xb9fd, -v124
	s_delay_alu instid0(VALU_DEP_4)
	v_add_f16_e64 v222, v224, v222
	v_mul_f16_e64 v224, 0x33a8, v121
	v_add_f16_e64 v221, v223, v221
	v_add_f16_e32 v53, v126, v53
	v_mul_f16_e32 v126, 0x3bf1, v121
	v_add_f16_e32 v7, v9, v7
	v_fma_f16 v225, v122, 0xbbc4, -v224
	v_fma_f16 v9, v111, 0x2fb7, -v15
	v_fmac_f16_e64 v224, 0xbbc4, v122
	v_fmamk_f16 v127, v122, 0x2fb7, v126
	v_fma_f16 v10, v122, 0x2fb7, -v126
	v_add_f16_e64 v43, v225, v43
	v_mul_f16_e64 v225, 0xba95, v68
	v_add_f16_e32 v8, v9, v8
	v_add_f16_e32 v53, v127, v53
	v_mul_u32_u24_e32 v9, 52, v113
	v_add_f16_e64 v30, v224, v30
	v_fma_f16 v226, 0x388b, v70, v225
	v_fma_f16 v223, v70, 0x388b, -v225
	v_add_f16_e32 v2, v2, v8
	v_or_b32_e32 v9, v9, v100
	v_add_f16_e32 v7, v10, v7
	v_add_f16_e64 v222, v226, v222
	v_mul_f16_e64 v226, 0x33a8, v101
	v_add_f16_e64 v221, v223, v221
	v_add_f16_e32 v2, v3, v2
	v_lshlrev_b32_e32 v9, 2, v9
	s_delay_alu instid0(VALU_DEP_4) | instskip(SKIP_1) | instid1(VALU_DEP_2)
	v_fma_f16 v227, 0xbbc4, v103, v226
	v_fma_f16 v223, v103, 0xbbc4, -v226
	v_add_f16_e64 v222, v227, v222
	v_mul_f16_e64 v227, 0x3a95, v129
	s_delay_alu instid0(VALU_DEP_3) | instskip(NEXT) | instid1(VALU_DEP_2)
	v_add_f16_e64 v221, v223, v221
	v_fma_f16 v228, v130, 0x388b, -v227
	v_fmac_f16_e64 v227, 0x388b, v130
	s_delay_alu instid0(VALU_DEP_2) | instskip(SKIP_1) | instid1(VALU_DEP_3)
	v_add_f16_e64 v43, v228, v43
	v_mul_f16_e64 v228, 0x3770, v104
	v_add_f16_e64 v30, v227, v30
	s_delay_alu instid0(VALU_DEP_2) | instskip(SKIP_1) | instid1(VALU_DEP_2)
	v_fma_f16 v229, 0x3b15, v106, v228
	v_fma_f16 v223, v106, 0x3b15, -v228
	v_add_f16_e64 v222, v229, v222
	v_mul_f16_e64 v229, 0x3bf1, v107
	s_delay_alu instid0(VALU_DEP_3) | instskip(NEXT) | instid1(VALU_DEP_2)
	v_add_f16_e64 v221, v223, v221
	v_fma_f16 v230, v108, 0x2fb7, -v229
	v_fmac_f16_e64 v229, 0x2fb7, v108
	s_delay_alu instid0(VALU_DEP_2) | instskip(SKIP_1) | instid1(VALU_DEP_3)
	v_add_f16_e64 v44, v230, v44
	v_mul_f16_e64 v230, 0xba95, v110
	v_add_f16_e64 v32, v229, v32
	s_delay_alu instid0(VALU_DEP_2) | instskip(SKIP_1) | instid1(VALU_DEP_2)
	v_fma_f16 v231, v111, 0x388b, -v230
	v_fmac_f16_e64 v230, 0x388b, v111
	v_add_f16_e64 v44, v231, v44
	v_mul_f16_e64 v231, 0x33a8, v114
	s_delay_alu instid0(VALU_DEP_3) | instskip(NEXT) | instid1(VALU_DEP_2)
	v_add_f16_e64 v32, v230, v32
	v_fma_f16 v232, v115, 0xbbc4, -v231
	v_fmac_f16_e64 v231, 0xbbc4, v115
	s_delay_alu instid0(VALU_DEP_2) | instskip(SKIP_1) | instid1(VALU_DEP_3)
	v_add_f16_e64 v44, v232, v44
	v_mul_f16_e64 v232, 0xbb7b, v118
	v_add_f16_e64 v32, v231, v32
	s_delay_alu instid0(VALU_DEP_2) | instskip(SKIP_1) | instid1(VALU_DEP_2)
	v_fma_f16 v233, 0xb5ac, v120, v232
	v_fma_f16 v223, v120, 0xb5ac, -v232
	v_add_f16_e64 v222, v233, v222
	v_mul_f16_e64 v233, 0xb3a8, v48
	s_delay_alu instid0(VALU_DEP_3) | instskip(NEXT) | instid1(VALU_DEP_2)
	v_add_f16_e64 v221, v223, v221
	v_fma_f16 v234, 0xbbc4, v57, v233
	v_fma_f16 v233, v57, 0xbbc4, -v233
	v_mul_f16_e32 v57, 0x3b15, v57
	s_delay_alu instid0(VALU_DEP_3) | instskip(NEXT) | instid1(VALU_DEP_3)
	v_add_f16_e64 v234, v117, v234
	v_add_f16_e64 v233, v117, v233
	s_delay_alu instid0(VALU_DEP_3) | instskip(SKIP_1) | instid1(VALU_DEP_4)
	v_fmamk_f16 v127, v48, 0x3770, v57
	v_fmac_f16_e32 v57, 0xb770, v48
	v_add_f16_e64 v234, v236, v234
	v_mul_f16_e64 v236, 0x3770, v121
	s_delay_alu instid0(VALU_DEP_4) | instskip(NEXT) | instid1(VALU_DEP_4)
	v_add_f16_e32 v127, v117, v127
	v_add_f16_e32 v6, v117, v57
	v_add_f16_e64 v233, v235, v233
	v_mul_f16_e64 v235, 0x3a95, v114
	v_fma_f16 v237, v122, 0x3b15, -v236
	v_add_f16_e64 v127, v128, v127
	v_mul_f16_e64 v128, 0x3b15, v120
	v_add_f16_e32 v6, v65, v6
	v_fmac_f16_e64 v236, 0x3b15, v122
	v_add_f16_e64 v44, v237, v44
	v_mul_f16_e64 v237, 0xb94e, v68
	v_fma_f16 v131, 0xb770, v118, v128
	v_fmac_f16_e64 v128, 0x3770, v118
	v_add_f16_e64 v32, v236, v32
	s_delay_alu instid0(VALU_DEP_4)
	v_fma_f16 v238, 0xb9fd, v70, v237
	v_fma_f16 v237, v70, 0xb9fd, -v237
	v_fmamk_f16 v70, v68, 0x3bf1, v37
	v_fmac_f16_e32 v37, 0xbbf1, v68
	v_add_f16_e64 v102, v131, v102
	v_add_f16_e64 v234, v238, v234
	v_mul_f16_e64 v238, 0x3a95, v101
	v_add_f16_e32 v70, v70, v127
	v_add_f16_e64 v233, v237, v233
	v_mul_f16_e64 v237, 0xbb7b, v121
	v_mul_f16_e64 v131, 0x3770, v129
	v_fma_f16 v239, 0x388b, v103, v238
	v_add_f16_e32 v38, v38, v70
	v_fma_f16 v238, v103, 0x388b, -v238
	v_add_f16_e32 v6, v37, v6
	v_fma_f16 v132, 0x3b15, v130, v131
	v_add_f16_e64 v234, v239, v234
	v_mul_f16_e64 v239, 0xbb7b, v129
	v_add_f16_e32 v38, v40, v38
	v_fmamk_f16 v40, v108, 0x388b, v35
	v_add_f16_e64 v233, v238, v233
	v_mul_f16_e64 v238, 0x3bf1, v129
	v_fma_f16 v240, v130, 0xb5ac, -v239
	v_add_f16_e32 v6, v36, v6
	v_add_f16_e32 v40, v40, v55
	v_fmac_f16_e64 v239, 0xb5ac, v130
	v_add_f16_e32 v31, v31, v38
	v_add_f16_e64 v44, v240, v44
	v_mul_f16_e64 v240, 0xbb7b, v104
	v_add_f16_e32 v16, v16, v40
	v_add_f16_e64 v53, v132, v53
	v_fma_f16 v8, v130, 0x3b15, -v131
	v_add_f16_e32 v6, v39, v6
	v_fma_f16 v241, 0xb5ac, v106, v240
	v_add_f16_e32 v13, v13, v16
	v_fma_f16 v240, v106, 0xb5ac, -v240
	v_add_f16_e64 v32, v239, v32
	v_pack_b32_f16 v10, v53, v102
	v_add_f16_e64 v234, v241, v234
	v_mul_f16_e64 v241, 0x3770, v107
	v_add_f16_e32 v11, v11, v13
	v_mul_f16_e64 v13, 0xb3a8, v129
	v_add_f16_e64 v233, v240, v233
	v_add_f16_e64 v4, v128, v4
	v_fma_f16 v242, v108, 0x3b15, -v241
	v_fmac_f16_e64 v241, 0x3b15, v108
	v_fma_f16 v14, 0xbbc4, v130, v13
	v_fma_f16 v3, v130, 0xbbc4, -v13
	v_add_f16_e32 v7, v8, v7
	v_add_f16_e64 v45, v242, v45
	v_mul_f16_e64 v242, 0xb94e, v110
	v_add_f16_e64 v34, v241, v34
	v_add_f16_e32 v11, v14, v11
	v_add_f16_e32 v1, v1, v6
	v_add_f16_e32 v2, v3, v2
	v_fma_f16 v243, v111, 0xb9fd, -v242
	v_fmac_f16_e64 v242, 0xb9fd, v111
	v_pack_b32_f16 v5, v11, v31
	v_pack_b32_f16 v11, v46, v60
	ds_store_2addr_b32 v9, v0, v5 offset1:4
	ds_store_2addr_b32 v9, v10, v11 offset0:8 offset1:12
	v_add_f16_e64 v45, v243, v45
	v_mul_f16_e64 v243, 0x3bf1, v118
	v_add_f16_e64 v34, v242, v34
	v_pack_b32_f16 v0, v30, v64
	v_pack_b32_f16 v3, v32, v221
	;; [unrolled: 1-line block ×3, first 2 shown]
	v_fma_f16 v244, 0x2fb7, v120, v243
	v_fma_f16 v240, v120, 0x2fb7, -v243
	v_pack_b32_f16 v10, v43, v125
	v_pack_b32_f16 v11, v33, v42
	v_pack_b32_f16 v4, v7, v4
	v_add_f16_e64 v234, v244, v234
	v_fma_f16 v244, v115, 0x388b, -v235
	v_fmac_f16_e64 v235, 0x388b, v115
	v_add_f16_e64 v233, v240, v233
	v_pack_b32_f16 v1, v2, v1
	s_delay_alu instid0(VALU_DEP_4) | instskip(SKIP_3) | instid1(VALU_DEP_3)
	v_add_f16_e64 v45, v244, v45
	v_fma_f16 v244, v122, 0xb5ac, -v237
	v_add_f16_e64 v34, v235, v34
	v_fmac_f16_e64 v237, 0xb5ac, v122
	v_add_f16_e64 v45, v244, v45
	v_fma_f16 v244, v130, 0x2fb7, -v238
	s_delay_alu instid0(VALU_DEP_3) | instskip(SKIP_1) | instid1(VALU_DEP_3)
	v_add_f16_e64 v34, v237, v34
	v_fmac_f16_e64 v238, 0x2fb7, v130
	v_add_f16_e64 v45, v244, v45
	s_delay_alu instid0(VALU_DEP_2) | instskip(NEXT) | instid1(VALU_DEP_2)
	v_add_f16_e64 v34, v238, v34
	v_pack_b32_f16 v6, v45, v234
	s_delay_alu instid0(VALU_DEP_2)
	v_pack_b32_f16 v5, v34, v233
	ds_store_2addr_b32 v9, v0, v3 offset0:16 offset1:20
	ds_store_2addr_b32 v9, v5, v6 offset0:24 offset1:28
	;; [unrolled: 1-line block ×4, first 2 shown]
	ds_store_b32 v9, v1 offset:192
.LBB0_9:
	s_wait_alu 0xfffe
	s_or_b32 exec_lo, exec_lo, s0
	v_add_nc_u32_e32 v1, 0x800, v83
	global_wb scope:SCOPE_SE
	s_wait_dscnt 0x0
	s_barrier_signal -1
	s_barrier_wait -1
	global_inv scope:SCOPE_SE
	ds_load_2addr_b32 v[6:7], v83 offset1:52
	ds_load_2addr_b32 v[8:9], v1 offset0:112 offset1:164
	ds_load_2addr_b32 v[10:11], v83 offset0:104 offset1:156
	v_add_nc_u32_e32 v5, 0xa00, v83
	v_add_nc_u32_e32 v4, 0x200, v83
	;; [unrolled: 1-line block ×5, first 2 shown]
	ds_load_2addr_b32 v[13:14], v5 offset0:88 offset1:140
	ds_load_2addr_b32 v[15:16], v4 offset0:80 offset1:132
	;; [unrolled: 1-line block ×9, first 2 shown]
	global_wb scope:SCOPE_SE
	s_wait_dscnt 0x0
	s_barrier_signal -1
	s_barrier_wait -1
	global_inv scope:SCOPE_SE
	s_mov_b32 s8, 0x1a41a41a
	s_mov_b32 s9, 0x3f4a41a4
	v_lshrrev_b32_e32 v43, 16, v6
	v_lshrrev_b32_e32 v45, 16, v8
	;; [unrolled: 1-line block ×3, first 2 shown]
	v_mul_f16_e64 v107, v147, v8
	v_lshrrev_b32_e32 v44, 16, v7
	v_lshrrev_b32_e32 v68, 16, v33
	v_mul_f16_e64 v106, v147, v45
	v_lshrrev_b32_e32 v48, 16, v13
	v_lshrrev_b32_e32 v55, 16, v14
	v_mul_f16_e64 v109, v147, v46
	v_lshrrev_b32_e32 v60, 16, v29
	v_fmac_f16_e64 v106, v145, v8
	v_fma_f16 v8, v145, v45, -v107
	v_mul_f16_e64 v45, v147, v9
	v_lshrrev_b32_e32 v64, 16, v30
	v_fmac_f16_e64 v109, v145, v9
	v_mul_f16_e64 v9, v156, v48
	v_mul_f16_e64 v107, v156, v13
	v_mul_f16_e64 v111, v157, v55
	v_fma_f16 v45, v145, v46, -v45
	v_mul_f16_e64 v46, v157, v14
	v_lshrrev_b32_e32 v101, 16, v37
	v_fmac_f16_e64 v9, v155, v13
	v_fma_f16 v13, v155, v48, -v107
	v_fmac_f16_e64 v111, v154, v14
	v_mul_f16_e64 v14, v158, v60
	v_fma_f16 v46, v154, v55, -v46
	v_mul_f16_e64 v48, v158, v29
	v_mul_f16_e64 v55, v159, v64
	;; [unrolled: 1-line block ×3, first 2 shown]
	v_lshrrev_b32_e32 v70, 16, v34
	v_lshrrev_b32_e32 v103, 16, v38
	v_fmac_f16_e64 v14, v153, v29
	v_mul_f16_e64 v29, v160, v68
	v_fma_f16 v48, v153, v60, -v48
	v_fmac_f16_e64 v55, v152, v30
	v_fma_f16 v30, v152, v64, -v107
	v_mul_f16_e64 v60, v160, v33
	v_mul_f16_e64 v107, v162, v101
	v_lshrrev_b32_e32 v105, 16, v41
	v_lshrrev_b32_e32 v110, 16, v42
	v_fmac_f16_e64 v29, v151, v33
	v_mul_f16_e64 v33, v161, v70
	v_mul_f16_e64 v64, v161, v34
	v_fma_f16 v60, v151, v68, -v60
	v_mul_f16_e64 v68, v162, v37
	v_fmac_f16_e64 v107, v149, v37
	v_mul_f16_e64 v37, v163, v103
	v_fmac_f16_e64 v33, v150, v34
	v_fma_f16 v34, v150, v70, -v64
	v_fma_f16 v64, v149, v101, -v68
	v_mul_f16_e64 v68, v163, v38
	v_mul_f16_e64 v70, v164, v105
	;; [unrolled: 1-line block ×3, first 2 shown]
	v_fmac_f16_e64 v37, v148, v38
	v_mul_f16_e64 v38, v165, v110
	v_lshrrev_b32_e32 v47, 16, v10
	v_fmac_f16_e64 v70, v146, v41
	v_fma_f16 v41, v146, v105, -v101
	v_mul_f16_e64 v101, v165, v42
	v_fmac_f16_e64 v38, v144, v42
	v_sub_f16_e32 v42, v6, v106
	v_sub_f16_e32 v8, v43, v8
	v_lshrrev_b32_e32 v53, 16, v11
	v_fma_f16 v68, v148, v103, -v68
	v_sub_f16_e32 v103, v7, v109
	v_sub_f16_e32 v45, v44, v45
	v_lshrrev_b32_e32 v57, 16, v15
	v_lshrrev_b32_e32 v61, 16, v16
	;; [unrolled: 1-line block ×4, first 2 shown]
	v_fma_f16 v6, v6, 2.0, -v42
	v_fma_f16 v43, v43, 2.0, -v8
	v_sub_f16_e32 v9, v10, v9
	v_sub_f16_e32 v13, v47, v13
	v_lshrrev_b32_e32 v100, 16, v35
	v_fma_f16 v7, v7, 2.0, -v103
	v_fma_f16 v44, v44, 2.0, -v45
	v_sub_f16_e32 v105, v11, v111
	v_sub_f16_e32 v46, v53, v46
	v_lshrrev_b32_e32 v102, 16, v36
	v_sub_f16_e32 v14, v15, v14
	v_sub_f16_e32 v48, v57, v48
	v_lshrrev_b32_e32 v104, 16, v39
	;; [unrolled: 3-line block ×3, first 2 shown]
	v_fma_f16 v101, v144, v110, -v101
	v_sub_f16_e32 v29, v31, v29
	v_sub_f16_e32 v60, v65, v60
	v_fma_f16 v10, v10, 2.0, -v9
	v_fma_f16 v47, v47, 2.0, -v13
	v_sub_f16_e32 v33, v32, v33
	v_sub_f16_e32 v34, v69, v34
	v_pack_b32_f16 v6, v6, v43
	v_pack_b32_f16 v8, v42, v8
	v_fma_f16 v11, v11, 2.0, -v105
	v_fma_f16 v53, v53, 2.0, -v46
	v_sub_f16_e32 v106, v35, v107
	v_sub_f16_e32 v64, v100, v64
	v_pack_b32_f16 v7, v7, v44
	v_pack_b32_f16 v42, v103, v45
	v_fma_f16 v15, v15, 2.0, -v14
	v_fma_f16 v57, v57, 2.0, -v48
	v_sub_f16_e32 v37, v36, v37
	v_sub_f16_e32 v68, v102, v68
	v_fma_f16 v16, v16, 2.0, -v55
	v_fma_f16 v61, v61, 2.0, -v30
	v_sub_f16_e32 v70, v39, v70
	v_sub_f16_e32 v41, v104, v41
	;; [unrolled: 4-line block ×3, first 2 shown]
	v_fma_f16 v32, v32, 2.0, -v33
	v_fma_f16 v69, v69, 2.0, -v34
	ds_store_2addr_b32 v83, v6, v8 offset1:52
	ds_store_2addr_b32 v83, v7, v42 offset0:104 offset1:156
	v_pack_b32_f16 v6, v10, v47
	v_pack_b32_f16 v7, v9, v13
	v_add_nc_u32_e32 v8, 0x200, v143
	v_fma_f16 v35, v35, 2.0, -v106
	v_fma_f16 v100, v100, 2.0, -v64
	v_pack_b32_f16 v9, v11, v53
	v_pack_b32_f16 v10, v105, v46
	v_add_nc_u32_e32 v11, 0x400, v142
	v_fma_f16 v36, v36, 2.0, -v37
	v_fma_f16 v102, v102, 2.0, -v68
	;; [unrolled: 5-line block ×4, first 2 shown]
	v_pack_b32_f16 v31, v31, v65
	v_pack_b32_f16 v29, v29, v60
	v_add_nc_u32_e32 v43, 0x800, v139
	ds_store_2addr_b32 v8, v6, v7 offset0:80 offset1:132
	ds_store_2addr_b32 v11, v9, v10 offset0:56 offset1:108
	;; [unrolled: 1-line block ×5, first 2 shown]
	v_pack_b32_f16 v6, v32, v69
	v_pack_b32_f16 v7, v33, v34
	v_add_nc_u32_e32 v8, 0xa00, v138
	v_pack_b32_f16 v9, v35, v100
	v_pack_b32_f16 v10, v106, v64
	v_add_nc_u32_e32 v11, 0xc00, v137
	;; [unrolled: 3-line block ×5, first 2 shown]
	ds_store_2addr_b32 v8, v6, v7 offset0:88 offset1:140
	ds_store_2addr_b32 v11, v9, v10 offset0:64 offset1:116
	;; [unrolled: 1-line block ×5, first 2 shown]
	global_wb scope:SCOPE_SE
	s_wait_dscnt 0x0
	s_barrier_signal -1
	s_barrier_wait -1
	global_inv scope:SCOPE_SE
	ds_load_2addr_b32 v[6:7], v83 offset1:52
	ds_load_2addr_b32 v[8:9], v2 offset0:160 offset1:212
	ds_load_2addr_b32 v[10:11], v3 offset0:64 offset1:116
	;; [unrolled: 1-line block ×11, first 2 shown]
	global_wb scope:SCOPE_SE
	s_wait_dscnt 0x0
	s_barrier_signal -1
	s_barrier_wait -1
	global_inv scope:SCOPE_SE
	v_lshrrev_b32_e32 v43, 16, v6
	v_lshrrev_b32_e32 v44, 16, v8
	;; [unrolled: 1-line block ×4, first 2 shown]
	v_mul_f16_e64 v108, v173, v8
	v_lshrrev_b32_e32 v48, 16, v11
	v_mul_f16_e64 v106, v173, v44
	v_mul_f16_e64 v110, v174, v45
	v_lshrrev_b32_e32 v55, 16, v15
	v_fma_f16 v44, v23, v44, -v108
	v_mul_f16_e64 v108, v171, v47
	v_fmac_f16_e32 v106, v23, v8
	v_mul_f16_e64 v8, v174, v10
	v_lshrrev_b32_e32 v57, 16, v29
	v_fmac_f16_e32 v110, v24, v10
	v_mul_f16_e64 v10, v171, v9
	v_fmac_f16_e32 v108, v21, v9
	v_fma_f16 v8, v24, v45, -v8
	v_mul_f16_e64 v45, v172, v48
	v_mul_f16_e64 v9, v172, v11
	v_lshrrev_b32_e32 v61, 16, v16
	v_fma_f16 v10, v21, v47, -v10
	v_mul_f16_e64 v47, v173, v55
	v_fmac_f16_e32 v45, v22, v11
	v_mul_f16_e64 v11, v173, v15
	v_fma_f16 v9, v22, v48, -v9
	v_mul_f16_e64 v48, v174, v57
	v_lshrrev_b32_e32 v64, 16, v30
	v_lshrrev_b32_e32 v68, 16, v33
	v_fmac_f16_e32 v47, v23, v15
	v_mul_f16_e64 v15, v174, v29
	v_fma_f16 v11, v23, v55, -v11
	v_mul_f16_e64 v23, v171, v61
	v_fmac_f16_e32 v48, v24, v29
	v_mul_f16_e64 v29, v171, v16
	v_lshrrev_b32_e32 v69, 16, v35
	v_fma_f16 v15, v24, v57, -v15
	v_mul_f16_e64 v24, v172, v64
	v_fmac_f16_e32 v23, v21, v16
	v_mul_f16_e64 v16, v172, v30
	v_fma_f16 v21, v21, v61, -v29
	v_mul_f16_e64 v29, v177, v68
	v_lshrrev_b32_e32 v100, 16, v34
	v_lshrrev_b32_e32 v101, 16, v36
	v_fmac_f16_e32 v24, v22, v30
	v_mul_f16_e64 v30, v177, v33
	v_fma_f16 v16, v22, v64, -v16
	v_mul_f16_e64 v22, v176, v69
	v_fmac_f16_e32 v29, v19, v33
	;; [unrolled: 15-line block ×3, first 2 shown]
	v_mul_f16_e64 v36, v182, v39
	v_lshrrev_b32_e32 v109, 16, v42
	v_fma_f16 v18, v18, v101, -v34
	v_mul_f16_e64 v34, v181, v104
	v_fmac_f16_e32 v35, v27, v39
	v_mul_f16_e64 v39, v181, v41
	v_fma_f16 v27, v27, v103, -v36
	v_mul_f16_e64 v36, v187, v107
	v_fmac_f16_e32 v34, v28, v41
	v_mul_f16_e64 v41, v187, v40
	;; [unrolled: 4-line block ×3, first 2 shown]
	v_fma_f16 v25, v25, v107, -v41
	v_add_f16_e32 v41, v106, v110
	v_fmac_f16_e32 v39, v26, v42
	v_add_f16_e32 v42, v6, v106
	v_fma_f16 v26, v26, v109, -v40
	v_add_f16_e32 v40, v44, v8
	v_fma_f16 v6, -0.5, v41, v6
	v_sub_f16_e32 v41, v44, v8
	v_add_f16_e32 v44, v43, v44
	v_lshrrev_b32_e32 v46, 16, v7
	v_fmac_f16_e32 v43, -0.5, v40
	v_sub_f16_e32 v40, v106, v110
	v_fmamk_f16 v55, v41, 0xbaee, v6
	v_fmac_f16_e32 v6, 0x3aee, v41
	v_add_f16_e32 v8, v44, v8
	v_add_f16_e32 v41, v108, v45
	v_fmamk_f16 v44, v40, 0x3aee, v43
	v_fmac_f16_e32 v43, 0xbaee, v40
	v_add_f16_e32 v40, v10, v9
	v_add_f16_e32 v57, v7, v108
	v_fmac_f16_e32 v7, -0.5, v41
	v_sub_f16_e32 v41, v10, v9
	v_add_f16_e32 v10, v46, v10
	v_fmac_f16_e32 v46, -0.5, v40
	v_sub_f16_e32 v40, v108, v45
	v_lshrrev_b32_e32 v53, 16, v13
	v_add_f16_e32 v57, v57, v45
	v_fmamk_f16 v45, v41, 0xbaee, v7
	v_fmac_f16_e32 v7, 0x3aee, v41
	v_add_f16_e32 v9, v10, v9
	v_add_f16_e32 v10, v47, v48
	v_fmamk_f16 v41, v40, 0x3aee, v46
	v_fmac_f16_e32 v46, 0xbaee, v40
	v_add_f16_e32 v40, v11, v15
	v_add_f16_e32 v61, v13, v47
	v_fma_f16 v10, -0.5, v10, v13
	v_sub_f16_e32 v13, v11, v15
	v_add_f16_e32 v11, v53, v11
	v_fmac_f16_e32 v53, -0.5, v40
	v_sub_f16_e32 v40, v47, v48
	v_lshrrev_b32_e32 v60, 16, v14
	v_fmamk_f16 v47, v13, 0xbaee, v10
	v_fmac_f16_e32 v10, 0x3aee, v13
	v_add_f16_e32 v11, v11, v15
	v_add_f16_e32 v13, v23, v24
	v_fmamk_f16 v15, v40, 0x3aee, v53
	v_fmac_f16_e32 v53, 0xbaee, v40
	v_add_f16_e32 v40, v21, v16
	v_add_f16_e32 v61, v61, v48
	;; [unrolled: 1-line block ×3, first 2 shown]
	v_fmac_f16_e32 v14, -0.5, v13
	v_sub_f16_e32 v13, v21, v16
	v_add_f16_e32 v21, v60, v21
	v_fmac_f16_e32 v60, -0.5, v40
	v_sub_f16_e32 v23, v23, v24
	v_lshrrev_b32_e32 v65, 16, v31
	v_add_f16_e32 v48, v48, v24
	v_fmamk_f16 v24, v13, 0xbaee, v14
	v_fmac_f16_e32 v14, 0x3aee, v13
	v_add_f16_e32 v13, v21, v16
	v_add_f16_e32 v16, v29, v22
	v_fmamk_f16 v21, v23, 0x3aee, v60
	v_add_f16_e32 v40, v31, v29
	v_fmac_f16_e32 v60, 0xbaee, v23
	v_add_f16_e32 v23, v19, v20
	v_fma_f16 v16, -0.5, v16, v31
	v_sub_f16_e32 v31, v19, v20
	v_add_f16_e32 v40, v40, v22
	v_add_f16_e32 v19, v65, v19
	v_fmac_f16_e32 v65, -0.5, v23
	v_sub_f16_e32 v22, v29, v22
	v_lshrrev_b32_e32 v70, 16, v32
	v_fmamk_f16 v23, v31, 0xbaee, v16
	v_add_f16_e32 v19, v19, v20
	v_add_f16_e32 v20, v30, v33
	v_fmamk_f16 v29, v22, 0x3aee, v65
	v_fmac_f16_e32 v65, 0xbaee, v22
	v_add_f16_e32 v22, v17, v18
	v_fmac_f16_e32 v16, 0x3aee, v31
	v_add_f16_e32 v31, v32, v30
	v_fmac_f16_e32 v32, -0.5, v20
	v_sub_f16_e32 v20, v17, v18
	v_add_f16_e32 v17, v70, v17
	v_fmac_f16_e32 v70, -0.5, v22
	v_sub_f16_e32 v22, v30, v33
	v_lshrrev_b32_e32 v102, 16, v37
	v_fmamk_f16 v30, v20, 0xbaee, v32
	v_fmac_f16_e32 v32, 0x3aee, v20
	v_add_f16_e32 v17, v17, v18
	v_add_f16_e32 v18, v35, v34
	v_fmamk_f16 v20, v22, 0x3aee, v70
	v_fmac_f16_e32 v70, 0xbaee, v22
	v_add_f16_e32 v22, v27, v28
	v_add_f16_e32 v31, v31, v33
	;; [unrolled: 1-line block ×3, first 2 shown]
	v_fma_f16 v18, -0.5, v18, v37
	v_sub_f16_e32 v37, v27, v28
	v_add_f16_e32 v27, v102, v27
	v_fmac_f16_e32 v102, -0.5, v22
	v_sub_f16_e32 v22, v35, v34
	v_lshrrev_b32_e32 v105, 16, v38
	v_add_f16_e32 v33, v33, v34
	v_add_f16_e32 v27, v27, v28
	;; [unrolled: 1-line block ×3, first 2 shown]
	v_fmamk_f16 v35, v22, 0x3aee, v102
	v_fmac_f16_e32 v102, 0xbaee, v22
	v_add_f16_e32 v22, v25, v26
	v_fmamk_f16 v34, v37, 0xbaee, v18
	v_fmac_f16_e32 v18, 0x3aee, v37
	v_add_f16_e32 v37, v38, v36
	v_fmac_f16_e32 v38, -0.5, v28
	v_sub_f16_e32 v28, v25, v26
	v_add_f16_e32 v25, v105, v25
	v_fmac_f16_e32 v105, -0.5, v22
	v_sub_f16_e32 v22, v36, v39
	v_add_f16_e32 v42, v42, v110
	v_pack_b32_f16 v6, v6, v43
	v_add_f16_e32 v25, v25, v26
	v_pack_b32_f16 v7, v7, v46
	v_fmamk_f16 v26, v22, 0x3aee, v105
	v_fmac_f16_e32 v105, 0xbaee, v22
	v_pack_b32_f16 v22, v55, v44
	v_pack_b32_f16 v8, v42, v8
	ds_store_b32 v83, v22 offset:416
	ds_store_b32 v83, v6 offset:832
	v_pack_b32_f16 v6, v57, v9
	v_pack_b32_f16 v9, v61, v11
	;; [unrolled: 1-line block ×4, first 2 shown]
	v_add_f16_e32 v36, v37, v39
	v_pack_b32_f16 v10, v10, v53
	v_pack_b32_f16 v15, v24, v21
	v_add_nc_u32_e32 v39, 0x600, v83
	ds_store_2addr_b32 v83, v8, v6 offset1:52
	v_pack_b32_f16 v6, v45, v41
	ds_store_2addr_b32 v2, v7, v9 offset0:4 offset1:56
	ds_store_2addr_b32 v2, v13, v11 offset0:108 offset1:160
	;; [unrolled: 1-line block ×3, first 2 shown]
	v_pack_b32_f16 v7, v14, v60
	v_pack_b32_f16 v8, v40, v19
	;; [unrolled: 1-line block ×3, first 2 shown]
	v_add_nc_u32_e32 v10, 0x800, v166
	v_pack_b32_f16 v11, v31, v17
	v_pack_b32_f16 v13, v30, v20
	v_add_nc_u32_e32 v14, 0x800, v167
	v_fmamk_f16 v37, v28, 0xbaee, v38
	v_fmac_f16_e32 v38, 0x3aee, v28
	ds_store_b32 v83, v6 offset:624
	ds_store_b32 v83, v7 offset:2288
	ds_store_2addr_b32 v10, v8, v9 offset0:112 offset1:216
	v_pack_b32_f16 v8, v33, v27
	v_pack_b32_f16 v9, v34, v35
	v_add_nc_u32_e32 v10, 0xe00, v169
	v_pack_b32_f16 v6, v16, v65
	ds_store_2addr_b32 v14, v11, v13 offset0:112 offset1:216
	v_pack_b32_f16 v11, v18, v102
	v_pack_b32_f16 v13, v36, v25
	;; [unrolled: 1-line block ×3, first 2 shown]
	v_add_nc_u32_e32 v15, 0xe00, v170
	v_pack_b32_f16 v7, v32, v70
	ds_store_2addr_b32 v10, v8, v9 offset0:40 offset1:144
	v_pack_b32_f16 v8, v38, v105
	ds_store_b32 v166, v6 offset:3328
	ds_store_b32 v169, v11 offset:4576
	ds_store_2addr_b32 v15, v13, v14 offset0:40 offset1:144
	ds_store_b32 v167, v7 offset:3328
	ds_store_b32 v170, v8 offset:4576
	global_wb scope:SCOPE_SE
	s_wait_dscnt 0x0
	s_barrier_signal -1
	s_barrier_wait -1
	global_inv scope:SCOPE_SE
	ds_load_2addr_b32 v[6:7], v83 offset1:52
	ds_load_2addr_b32 v[8:9], v1 offset0:112 offset1:164
	ds_load_2addr_b32 v[10:11], v83 offset0:104 offset1:156
	;; [unrolled: 1-line block ×11, first 2 shown]
	global_wb scope:SCOPE_SE
	s_wait_dscnt 0x0
	s_barrier_signal -1
	s_barrier_wait -1
	global_inv scope:SCOPE_SE
	v_lshrrev_b32_e32 v31, 16, v6
	v_lshrrev_b32_e32 v32, 16, v8
	;; [unrolled: 1-line block ×3, first 2 shown]
	v_mul_f16_e64 v65, v190, v8
	v_lshrrev_b32_e32 v36, 16, v13
	v_lshrrev_b32_e32 v38, 16, v14
	v_mul_f16_e64 v64, v190, v32
	v_mul_f16_e64 v69, v189, v34
	v_lshrrev_b32_e32 v41, 16, v17
	v_lshrrev_b32_e32 v43, 16, v18
	v_mul_f16_e64 v100, v192, v38
	v_fmac_f16_e64 v64, v168, v8
	v_fma_f16 v8, v168, v32, -v65
	v_mul_f16_e64 v32, v189, v9
	v_fmac_f16_e64 v69, v175, v9
	v_mul_f16_e64 v9, v191, v36
	v_mul_f16_e64 v65, v191, v13
	v_lshrrev_b32_e32 v45, 16, v21
	v_fma_f16 v32, v175, v34, -v32
	v_mul_f16_e64 v34, v192, v14
	v_lshrrev_b32_e32 v53, 16, v25
	v_fmac_f16_e64 v9, v185, v13
	v_fma_f16 v13, v185, v36, -v65
	v_fmac_f16_e64 v100, v184, v14
	v_mul_f16_e64 v14, v193, v41
	v_fma_f16 v34, v184, v38, -v34
	v_mul_f16_e64 v36, v193, v17
	v_mul_f16_e64 v38, v194, v43
	;; [unrolled: 1-line block ×3, first 2 shown]
	v_lshrrev_b32_e32 v47, 16, v22
	v_lshrrev_b32_e32 v57, 16, v26
	v_fmac_f16_e64 v14, v183, v17
	v_mul_f16_e64 v17, v190, v45
	v_fma_f16 v36, v183, v41, -v36
	v_fmac_f16_e64 v38, v180, v18
	v_fma_f16 v18, v180, v43, -v65
	v_mul_f16_e64 v41, v190, v21
	v_mul_f16_e64 v65, v191, v53
	v_lshrrev_b32_e32 v61, 16, v29
	v_lshrrev_b32_e32 v70, 16, v30
	v_fmac_f16_e64 v17, v168, v21
	v_mul_f16_e64 v21, v189, v47
	v_mul_f16_e64 v43, v189, v22
	v_fma_f16 v41, v168, v45, -v41
	v_mul_f16_e64 v45, v191, v25
	v_fmac_f16_e64 v65, v185, v25
	v_mul_f16_e64 v25, v192, v57
	v_lshrrev_b32_e32 v33, 16, v7
	v_fmac_f16_e64 v21, v175, v22
	v_fma_f16 v22, v175, v47, -v43
	v_fma_f16 v43, v185, v53, -v45
	v_mul_f16_e64 v45, v192, v26
	v_mul_f16_e64 v47, v193, v61
	;; [unrolled: 1-line block ×3, first 2 shown]
	v_fmac_f16_e64 v25, v184, v26
	v_mul_f16_e64 v26, v194, v70
	v_lshrrev_b32_e32 v35, 16, v10
	v_lshrrev_b32_e32 v37, 16, v11
	v_fma_f16 v45, v184, v57, -v45
	v_fmac_f16_e64 v47, v183, v29
	v_fma_f16 v29, v183, v61, -v53
	v_mul_f16_e64 v53, v194, v30
	v_fmac_f16_e64 v26, v180, v30
	v_sub_f16_e32 v30, v6, v64
	v_sub_f16_e32 v8, v31, v8
	;; [unrolled: 1-line block ×8, first 2 shown]
	v_lshrrev_b32_e32 v40, 16, v15
	v_lshrrev_b32_e32 v42, 16, v16
	;; [unrolled: 1-line block ×5, first 2 shown]
	v_fma_f16 v6, v6, 2.0, -v30
	v_fma_f16 v31, v31, 2.0, -v8
	;; [unrolled: 1-line block ×8, first 2 shown]
	v_sub_f16_e32 v14, v15, v14
	v_sub_f16_e32 v36, v40, v36
	;; [unrolled: 1-line block ×8, first 2 shown]
	v_pack_b32_f16 v8, v30, v8
	v_lshrrev_b32_e32 v55, 16, v24
	v_lshrrev_b32_e32 v60, 16, v27
	v_sub_f16_e32 v17, v19, v17
	v_sub_f16_e32 v41, v44, v41
	v_pack_b32_f16 v6, v6, v31
	v_pack_b32_f16 v7, v7, v33
	;; [unrolled: 1-line block ×4, first 2 shown]
	v_lshrrev_b32_e32 v68, 16, v28
	v_fma_f16 v53, v180, v70, -v53
	v_pack_b32_f16 v10, v10, v35
	v_pack_b32_f16 v11, v11, v37
	v_fma_f16 v15, v15, 2.0, -v14
	v_fma_f16 v40, v40, 2.0, -v36
	;; [unrolled: 1-line block ×8, first 2 shown]
	ds_store_b32 v83, v8 offset:1248
	ds_store_2addr_b32 v83, v6, v7 offset1:52
	ds_store_2addr_b32 v2, v30, v9 offset0:108 offset1:160
	ds_store_2addr_b32 v83, v10, v11 offset0:104 offset1:156
	v_pack_b32_f16 v6, v61, v34
	v_pack_b32_f16 v7, v14, v36
	v_fma_f16 v19, v19, 2.0, -v17
	v_fma_f16 v44, v44, 2.0, -v41
	v_sub_f16_e32 v25, v24, v25
	v_sub_f16_e32 v45, v55, v45
	;; [unrolled: 1-line block ×6, first 2 shown]
	v_pack_b32_f16 v8, v15, v40
	v_pack_b32_f16 v9, v16, v42
	ds_store_2addr_b32 v39, v6, v7 offset0:84 offset1:136
	v_pack_b32_f16 v6, v20, v46
	v_pack_b32_f16 v7, v23, v48
	v_fma_f16 v24, v24, 2.0, -v25
	v_fma_f16 v55, v55, 2.0, -v45
	v_fma_f16 v27, v27, 2.0, -v47
	v_fma_f16 v60, v60, 2.0, -v29
	v_pack_b32_f16 v10, v38, v18
	v_pack_b32_f16 v11, v19, v44
	v_fma_f16 v28, v28, 2.0, -v26
	v_fma_f16 v65, v68, 2.0, -v53
	ds_store_2addr_b32 v4, v8, v9 offset0:80 offset1:132
	ds_store_2addr_b32 v1, v10, v11 offset0:60 offset1:112
	v_pack_b32_f16 v9, v21, v22
	ds_store_2addr_b32 v1, v6, v7 offset0:164 offset1:216
	v_pack_b32_f16 v6, v64, v43
	v_add_nc_u32_e32 v31, 0xe00, v83
	v_pack_b32_f16 v7, v24, v55
	v_pack_b32_f16 v11, v27, v60
	;; [unrolled: 1-line block ×7, first 2 shown]
	ds_store_2addr_b32 v31, v9, v6 offset0:92 offset1:144
	ds_store_2addr_b32 v3, v7, v11 offset0:12 offset1:64
	;; [unrolled: 1-line block ×4, first 2 shown]
	ds_store_b32 v83, v15 offset:4784
	global_wb scope:SCOPE_SE
	s_wait_dscnt 0x0
	s_barrier_signal -1
	s_barrier_wait -1
	global_inv scope:SCOPE_SE
	ds_load_2addr_b32 v[6:7], v83 offset1:52
	ds_load_2addr_b32 v[8:9], v1 offset0:112 offset1:164
	ds_load_2addr_b32 v[10:11], v83 offset0:104 offset1:156
	;; [unrolled: 1-line block ×11, first 2 shown]
	s_wait_dscnt 0xb
	v_lshrrev_b32_e32 v32, 16, v6
	s_wait_dscnt 0xa
	v_lshrrev_b32_e32 v33, 16, v8
	v_lshrrev_b32_e32 v35, 16, v9
	s_wait_dscnt 0x8
	v_lshrrev_b32_e32 v37, 16, v13
	v_lshrrev_b32_e32 v39, 16, v14
	v_mul_f16_e64 v65, v203, v8
	v_mul_f16_e64 v61, v203, v33
	s_wait_dscnt 0x6
	v_lshrrev_b32_e32 v41, 16, v17
	v_lshrrev_b32_e32 v43, 16, v18
	v_mul_f16_e64 v70, v204, v37
	v_fma_f16 v33, v188, v33, -v65
	v_fmac_f16_e64 v61, v188, v8
	v_mul_f16_e64 v8, v202, v35
	v_mul_f16_e64 v65, v202, v9
	v_mul_f16_e64 v100, v204, v13
	s_wait_dscnt 0x4
	v_lshrrev_b32_e32 v45, 16, v21
	v_fmac_f16_e64 v70, v196, v13
	v_fmac_f16_e64 v8, v195, v9
	v_mul_f16_e64 v9, v205, v39
	v_fma_f16 v35, v195, v35, -v65
	v_fma_f16 v13, v196, v37, -v100
	v_mul_f16_e64 v37, v205, v14
	v_mul_f16_e64 v65, v206, v17
	v_fmac_f16_e64 v9, v197, v14
	v_mul_f16_e64 v14, v206, v41
	v_mul_f16_e64 v100, v207, v43
	v_lshrrev_b32_e32 v47, 16, v22
	s_wait_dscnt 0x2
	v_lshrrev_b32_e32 v53, 16, v25
	v_fma_f16 v37, v197, v39, -v37
	v_mul_f16_e64 v39, v207, v18
	v_fmac_f16_e64 v14, v198, v17
	v_fma_f16 v17, v198, v41, -v65
	v_fmac_f16_e64 v100, v199, v18
	v_mul_f16_e64 v18, v208, v45
	v_mul_f16_e64 v41, v208, v21
	v_lshrrev_b32_e32 v57, 16, v26
	s_wait_dscnt 0x1
	v_lshrrev_b32_e32 v64, 16, v29
	v_fma_f16 v39, v199, v43, -v39
	v_mul_f16_e64 v43, v210, v47
	v_mul_f16_e64 v65, v210, v22
	v_fmac_f16_e64 v18, v200, v21
	v_mul_f16_e64 v21, v214, v53
	v_fma_f16 v41, v200, v45, -v41
	v_mul_f16_e64 v45, v214, v25
	v_lshrrev_b32_e32 v69, 16, v30
	v_fmac_f16_e64 v43, v201, v22
	v_fma_f16 v22, v201, v47, -v65
	v_fmac_f16_e64 v21, v209, v25
	v_mul_f16_e64 v25, v215, v57
	v_mul_f16_e64 v47, v215, v26
	;; [unrolled: 1-line block ×3, first 2 shown]
	v_fma_f16 v45, v209, v53, -v45
	v_mul_f16_e64 v53, v216, v29
	v_lshrrev_b32_e32 v34, 16, v7
	v_lshrrev_b32_e32 v36, 16, v10
	;; [unrolled: 1-line block ×3, first 2 shown]
	v_fmac_f16_e64 v25, v211, v26
	v_fma_f16 v26, v211, v57, -v47
	v_fmac_f16_e64 v65, v212, v29
	v_mul_f16_e64 v29, v217, v69
	v_fma_f16 v47, v212, v64, -v53
	v_mul_f16_e64 v53, v217, v30
	v_sub_f16_e32 v57, v6, v61
	v_sub_f16_e32 v33, v32, v33
	;; [unrolled: 1-line block ×4, first 2 shown]
	v_lshrrev_b32_e32 v40, 16, v15
	v_lshrrev_b32_e32 v42, 16, v16
	;; [unrolled: 1-line block ×4, first 2 shown]
	v_fmac_f16_e64 v29, v213, v30
	v_fma_f16 v30, v213, v69, -v53
	v_fma_f16 v6, v6, 2.0, -v57
	v_fma_f16 v32, v32, 2.0, -v33
	v_sub_f16_e32 v53, v10, v70
	v_sub_f16_e32 v13, v36, v13
	;; [unrolled: 1-line block ×4, first 2 shown]
	v_lshrrev_b32_e32 v48, 16, v23
	v_lshrrev_b32_e32 v55, 16, v24
	v_fma_f16 v7, v7, 2.0, -v8
	v_fma_f16 v34, v34, 2.0, -v35
	v_sub_f16_e32 v14, v15, v14
	v_sub_f16_e32 v17, v40, v17
	;; [unrolled: 1-line block ×4, first 2 shown]
	s_wait_dscnt 0x0
	v_lshrrev_b32_e32 v60, 16, v27
	v_lshrrev_b32_e32 v68, 16, v28
	v_sub_f16_e32 v18, v19, v18
	v_sub_f16_e32 v41, v44, v41
	;; [unrolled: 1-line block ×4, first 2 shown]
	v_fma_f16 v10, v10, 2.0, -v53
	v_fma_f16 v36, v36, 2.0, -v13
	v_fma_f16 v11, v11, 2.0, -v9
	v_fma_f16 v38, v38, 2.0, -v37
	v_pack_b32_f16 v6, v6, v32
	v_pack_b32_f16 v32, v57, v33
	v_sub_f16_e32 v21, v23, v21
	v_sub_f16_e32 v45, v48, v45
	;; [unrolled: 1-line block ×4, first 2 shown]
	v_pack_b32_f16 v7, v7, v34
	v_pack_b32_f16 v8, v8, v35
	;; [unrolled: 1-line block ×3, first 2 shown]
	v_fma_f16 v15, v15, 2.0, -v14
	v_fma_f16 v40, v40, 2.0, -v17
	;; [unrolled: 1-line block ×4, first 2 shown]
	v_sub_f16_e32 v64, v27, v65
	v_sub_f16_e32 v47, v60, v47
	;; [unrolled: 1-line block ×4, first 2 shown]
	v_fma_f16 v19, v19, 2.0, -v18
	v_fma_f16 v44, v44, 2.0, -v41
	;; [unrolled: 1-line block ×4, first 2 shown]
	ds_store_b32 v83, v32 offset:2496
	ds_store_2addr_b32 v83, v6, v7 offset1:52
	v_pack_b32_f16 v6, v10, v36
	v_pack_b32_f16 v7, v11, v38
	v_fma_f16 v23, v23, 2.0, -v21
	v_fma_f16 v48, v48, 2.0, -v45
	;; [unrolled: 1-line block ×4, first 2 shown]
	ds_store_2addr_b32 v1, v8, v13 offset0:164 offset1:216
	v_pack_b32_f16 v8, v9, v37
	v_pack_b32_f16 v10, v14, v17
	;; [unrolled: 1-line block ×4, first 2 shown]
	v_fma_f16 v27, v27, 2.0, -v64
	v_fma_f16 v60, v60, 2.0, -v47
	;; [unrolled: 1-line block ×4, first 2 shown]
	v_pack_b32_f16 v13, v61, v39
	v_pack_b32_f16 v15, v18, v41
	;; [unrolled: 1-line block ×4, first 2 shown]
	ds_store_2addr_b32 v83, v6, v7 offset0:104 offset1:156
	ds_store_2addr_b32 v3, v8, v10 offset0:12 offset1:64
	;; [unrolled: 1-line block ×5, first 2 shown]
	v_pack_b32_f16 v6, v43, v22
	v_pack_b32_f16 v8, v21, v45
	;; [unrolled: 1-line block ×9, first 2 shown]
	ds_store_2addr_b32 v31, v6, v8 offset0:92 offset1:144
	ds_store_2addr_b32 v2, v7, v9 offset0:160 offset1:212
	ds_store_2addr_b32 v0, v10, v13 offset0:68 offset1:120
	ds_store_2addr_b32 v1, v11, v14 offset0:8 offset1:60
	ds_store_b32 v83, v15 offset:4784
	global_wb scope:SCOPE_SE
	s_wait_dscnt 0x0
	s_barrier_signal -1
	s_barrier_wait -1
	global_inv scope:SCOPE_SE
	ds_load_2addr_b32 v[6:7], v83 offset1:52
	ds_load_2addr_b32 v[13:14], v1 offset0:112 offset1:164
	s_wait_dscnt 0x1
	v_lshrrev_b32_e32 v10, 16, v6
	s_delay_alu instid0(VALU_DEP_1) | instskip(NEXT) | instid1(VALU_DEP_1)
	v_mul_f16_e32 v8, v99, v10
	v_fmac_f16_e32 v8, v94, v6
	v_mul_f16_e32 v6, v99, v6
	s_delay_alu instid0(VALU_DEP_2) | instskip(NEXT) | instid1(VALU_DEP_2)
	v_cvt_f32_f16_e32 v8, v8
	v_fma_f16 v6, v94, v10, -v6
	s_delay_alu instid0(VALU_DEP_2) | instskip(NEXT) | instid1(VALU_DEP_2)
	v_cvt_f64_f32_e32 v[8:9], v8
	v_cvt_f32_f16_e32 v6, v6
	s_delay_alu instid0(VALU_DEP_1) | instskip(SKIP_2) | instid1(VALU_DEP_1)
	v_cvt_f64_f32_e32 v[10:11], v6
	s_wait_dscnt 0x0
	v_lshrrev_b32_e32 v6, 16, v13
	v_mul_f16_e32 v15, v98, v6
	s_delay_alu instid0(VALU_DEP_1) | instskip(SKIP_1) | instid1(VALU_DEP_2)
	v_fmac_f16_e32 v15, v93, v13
	v_mul_f16_e32 v13, v98, v13
	v_cvt_f32_f16_e32 v15, v15
	s_delay_alu instid0(VALU_DEP_2) | instskip(NEXT) | instid1(VALU_DEP_2)
	v_fma_f16 v6, v93, v6, -v13
	v_cvt_f64_f32_e32 v[15:16], v15
	s_delay_alu instid0(VALU_DEP_2) | instskip(SKIP_3) | instid1(VALU_DEP_4)
	v_cvt_f32_f16_e32 v6, v6
	s_wait_alu 0xfffe
	v_mul_f64_e32 v[8:9], s[8:9], v[8:9]
	v_mul_f64_e32 v[10:11], s[8:9], v[10:11]
	;; [unrolled: 1-line block ×3, first 2 shown]
	s_delay_alu instid0(VALU_DEP_3) | instskip(SKIP_3) | instid1(VALU_DEP_4)
	v_and_or_b32 v8, 0x1ff, v9, v8
	v_lshrrev_b32_e32 v17, 8, v9
	v_bfe_u32 v18, v9, 20, 11
	v_lshrrev_b32_e32 v26, 16, v9
	v_cmp_ne_u32_e32 vcc_lo, 0, v8
	v_and_or_b32 v10, 0x1ff, v11, v10
	v_lshrrev_b32_e32 v21, 8, v11
	v_bfe_u32 v22, v11, 20, 11
	v_lshrrev_b32_e32 v11, 16, v11
	s_wait_alu 0xfffd
	v_cndmask_b32_e64 v8, 0, 1, vcc_lo
	v_cmp_ne_u32_e32 vcc_lo, 0, v10
	v_sub_nc_u32_e32 v13, 0x3f1, v22
	s_delay_alu instid0(VALU_DEP_3)
	v_and_or_b32 v8, 0xffe, v17, v8
	v_sub_nc_u32_e32 v17, 0x3f1, v18
	s_wait_alu 0xfffd
	v_cndmask_b32_e64 v10, 0, 1, vcc_lo
	v_med3_i32 v13, v13, 0, 13
	v_or_b32_e32 v19, 0x1000, v8
	v_med3_i32 v17, v17, 0, 13
	s_delay_alu instid0(VALU_DEP_4) | instskip(SKIP_1) | instid1(VALU_DEP_3)
	v_and_or_b32 v10, 0xffe, v21, v10
	v_add_nc_u32_e32 v21, 0xfffffc10, v18
	v_lshrrev_b32_e32 v20, v17, v19
	s_delay_alu instid0(VALU_DEP_3) | instskip(SKIP_1) | instid1(VALU_DEP_3)
	v_or_b32_e32 v23, 0x1000, v10
	v_and_or_b32 v15, 0x1ff, v16, v15
	v_lshlrev_b32_e32 v17, v17, v20
	s_delay_alu instid0(VALU_DEP_3) | instskip(NEXT) | instid1(VALU_DEP_2)
	v_lshrrev_b32_e32 v24, v13, v23
	v_cmp_ne_u32_e32 vcc_lo, v17, v19
	s_wait_alu 0xfffd
	v_cndmask_b32_e64 v17, 0, 1, vcc_lo
	v_cmp_gt_i32_e32 vcc_lo, 1, v21
	s_delay_alu instid0(VALU_DEP_2) | instskip(SKIP_3) | instid1(VALU_DEP_1)
	v_or_b32_e32 v19, v20, v17
	v_cvt_f64_f32_e32 v[17:18], v6
	v_lshl_or_b32 v6, v21, 12, v8
	s_wait_alu 0xfffd
	v_dual_cndmask_b32 v25, v6, v19 :: v_dual_lshlrev_b32 v6, v13, v24
	v_mad_co_u64_u32 v[19:20], null, s6, v12, 0
	s_delay_alu instid0(VALU_DEP_2) | instskip(NEXT) | instid1(VALU_DEP_3)
	v_and_b32_e32 v13, 7, v25
	v_cmp_ne_u32_e32 vcc_lo, v6, v23
	v_add_nc_u32_e32 v23, 0xfffffc10, v22
	s_delay_alu instid0(VALU_DEP_3)
	v_cmp_eq_u32_e64 s0, 3, v13
	s_wait_alu 0xfffd
	v_cndmask_b32_e64 v6, 0, 1, vcc_lo
	v_cmp_lt_i32_e32 vcc_lo, 5, v13
	v_lshrrev_b32_e32 v13, 2, v25
	v_cmp_gt_i32_e64 s1, 1, v23
	s_delay_alu instid0(VALU_DEP_4) | instskip(SKIP_3) | instid1(VALU_DEP_2)
	v_or_b32_e32 v22, v24, v6
	v_lshl_or_b32 v24, v23, 12, v10
	s_or_b32 vcc_lo, s0, vcc_lo
	v_mov_b32_e32 v6, v20
	v_cndmask_b32_e64 v20, v24, v22, s1
	s_wait_alu 0xfffe
	v_add_co_ci_u32_e32 v22, vcc_lo, 0, v13, vcc_lo
	v_cmp_ne_u32_e32 vcc_lo, 0, v8
	v_mad_co_u64_u32 v[12:13], null, s7, v12, v[6:7]
	v_and_b32_e32 v24, 7, v20
	v_cmp_eq_u32_e64 s1, 0x40f, v21
	s_wait_alu 0xfffd
	v_cndmask_b32_e64 v8, 0, 1, vcc_lo
	v_cmp_gt_i32_e32 vcc_lo, 31, v21
	v_mul_f64_e32 v[17:18], s[8:9], v[17:18]
	v_cmp_eq_u32_e64 s0, 3, v24
	v_lshrrev_b32_e32 v13, 16, v7
	v_lshl_or_b32 v8, v8, 9, 0x7c00
	s_wait_alu 0xfffd
	v_cndmask_b32_e32 v6, 0x7c00, v22, vcc_lo
	v_cmp_lt_i32_e32 vcc_lo, 5, v24
	v_lshrrev_b32_e32 v21, 8, v16
	v_bfe_u32 v24, v16, 20, 11
	v_lshrrev_b32_e32 v16, 16, v16
	s_wait_alu 0xf1ff
	v_cndmask_b32_e64 v6, v6, v8, s1
	v_lshrrev_b32_e32 v8, 2, v20
	s_or_b32 vcc_lo, s0, vcc_lo
	v_mul_f16_e32 v20, v97, v13
	v_sub_nc_u32_e32 v25, 0x3f1, v24
	v_and_or_b32 v26, 0x8000, v26, v6
	s_wait_alu 0xfffe
	v_add_co_ci_u32_e32 v8, vcc_lo, 0, v8, vcc_lo
	v_cmp_ne_u32_e32 vcc_lo, 0, v10
	v_fmac_f16_e32 v20, v90, v7
	v_med3_i32 v25, v25, 0, 13
	v_mul_f16_e32 v7, v97, v7
	v_add_nc_u32_e32 v24, 0xfffffc10, v24
	s_wait_alu 0xfffd
	v_cndmask_b32_e64 v10, 0, 1, vcc_lo
	v_cmp_ne_u32_e32 vcc_lo, 0, v15
	v_cvt_f32_f16_e32 v20, v20
	v_fma_f16 v7, v90, v13, -v7
	s_movk_i32 s6, 0xf710
	v_lshl_or_b32 v10, v10, 9, 0x7c00
	s_wait_alu 0xfffd
	v_cndmask_b32_e64 v15, 0, 1, vcc_lo
	v_cmp_gt_i32_e32 vcc_lo, 31, v23
	v_cvt_f32_f16_e32 v7, v7
	s_mov_b32 s7, -1
	s_delay_alu instid0(VALU_DEP_3)
	v_and_or_b32 v15, 0xffe, v21, v15
	v_cvt_f64_f32_e32 v[21:22], v20
	s_wait_alu 0xfffd
	v_cndmask_b32_e32 v8, 0x7c00, v8, vcc_lo
	v_cmp_eq_u32_e32 vcc_lo, 0x40f, v23
	v_mov_b32_e32 v20, v12
	v_or_b32_e32 v27, 0x1000, v15
	v_lshrrev_b32_e32 v13, 8, v18
	s_wait_alu 0xfffe
	s_mul_u64 s[6:7], s[4:5], s[6:7]
	s_wait_alu 0xfffd
	v_cndmask_b32_e32 v10, v8, v10, vcc_lo
	v_mad_co_u64_u32 v[8:9], null, s4, v87, 0
	v_lshrrev_b32_e32 v23, v25, v27
	s_delay_alu instid0(VALU_DEP_1) | instskip(NEXT) | instid1(VALU_DEP_4)
	v_lshlrev_b32_e32 v12, v25, v23
	v_and_or_b32 v25, 0x8000, v11, v10
	v_and_or_b32 v10, 0x1ff, v18, v17
	v_mov_b32_e32 v6, v9
	v_bfe_u32 v17, v18, 20, 11
	v_cmp_ne_u32_e32 vcc_lo, v12, v27
	v_lshrrev_b32_e32 v18, 16, v18
	s_wait_alu 0xfffd
	v_cndmask_b32_e64 v9, 0, 1, vcc_lo
	v_cmp_ne_u32_e32 vcc_lo, 0, v10
	v_cvt_f64_f32_e32 v[10:11], v7
	v_mad_co_u64_u32 v[6:7], null, s5, v87, v[6:7]
	s_delay_alu instid0(VALU_DEP_4) | instskip(SKIP_3) | instid1(VALU_DEP_2)
	v_or_b32_e32 v9, v23, v9
	s_wait_alu 0xfffd
	v_cndmask_b32_e64 v12, 0, 1, vcc_lo
	v_cmp_gt_i32_e32 vcc_lo, 1, v24
	v_and_or_b32 v23, 0xffe, v13, v12
	v_lshl_or_b32 v13, v24, 12, v15
	v_sub_nc_u32_e32 v12, 0x3f1, v17
	v_add_nc_u32_e32 v17, 0xfffffc10, v17
	s_delay_alu instid0(VALU_DEP_4)
	v_or_b32_e32 v27, 0x1000, v23
	s_wait_alu 0xfffd
	v_cndmask_b32_e32 v28, v13, v9, vcc_lo
	v_med3_i32 v7, v12, 0, 13
	v_mul_f64_e32 v[12:13], s[8:9], v[21:22]
	v_and_b32_e32 v21, 0xffff, v26
	s_delay_alu instid0(VALU_DEP_4) | instskip(NEXT) | instid1(VALU_DEP_4)
	v_dual_mov_b32 v9, v6 :: v_dual_and_b32 v26, 7, v28
	v_lshrrev_b32_e32 v22, v7, v27
	s_delay_alu instid0(VALU_DEP_3) | instskip(NEXT) | instid1(VALU_DEP_3)
	v_lshl_or_b32 v25, v25, 16, v21
	v_lshlrev_b64_e32 v[8:9], 2, v[8:9]
	s_delay_alu instid0(VALU_DEP_4) | instskip(SKIP_4) | instid1(VALU_DEP_4)
	v_cmp_lt_i32_e32 vcc_lo, 5, v26
	v_cmp_eq_u32_e64 s0, 3, v26
	v_lshlrev_b32_e32 v21, v7, v22
	v_lshlrev_b64_e32 v[6:7], 2, v[19:20]
	v_lshrrev_b32_e32 v19, 2, v28
	s_or_b32 vcc_lo, s0, vcc_lo
	s_delay_alu instid0(VALU_DEP_3)
	v_cmp_ne_u32_e64 s1, v21, v27
	v_lshl_or_b32 v21, v17, 12, v23
	s_wait_alu 0xfffe
	v_add_co_ci_u32_e32 v19, vcc_lo, 0, v19, vcc_lo
	v_cmp_ne_u32_e32 vcc_lo, 0, v15
	s_wait_alu 0xf1ff
	v_cndmask_b32_e64 v20, 0, 1, s1
	v_mul_f64_e32 v[10:11], s[8:9], v[10:11]
	s_wait_alu 0xfffd
	v_cndmask_b32_e64 v15, 0, 1, vcc_lo
	v_cmp_gt_i32_e32 vcc_lo, 31, v24
	v_or_b32_e32 v20, v22, v20
	v_lshrrev_b32_e32 v22, 16, v14
	s_delay_alu instid0(VALU_DEP_4)
	v_lshl_or_b32 v15, v15, 9, 0x7c00
	s_wait_alu 0xfffd
	v_cndmask_b32_e32 v19, 0x7c00, v19, vcc_lo
	v_cmp_gt_i32_e32 vcc_lo, 1, v17
	s_wait_alu 0xfffd
	v_cndmask_b32_e32 v20, v21, v20, vcc_lo
	v_add_co_u32 v6, vcc_lo, s2, v6
	v_mul_f16_e32 v21, v96, v22
	s_wait_alu 0xfffd
	v_add_co_ci_u32_e32 v7, vcc_lo, s3, v7, vcc_lo
	v_and_b32_e32 v26, 7, v20
	v_cmp_eq_u32_e32 vcc_lo, 0x40f, v24
	v_fmac_f16_e32 v21, v89, v14
	v_and_or_b32 v12, 0x1ff, v13, v12
	v_lshrrev_b32_e32 v24, 2, v20
	v_cmp_eq_u32_e64 s0, 3, v26
	s_wait_alu 0xfffd
	v_cndmask_b32_e32 v15, v19, v15, vcc_lo
	v_cmp_lt_i32_e32 vcc_lo, 5, v26
	v_cvt_f32_f16_e32 v19, v21
	v_cmp_ne_u32_e64 s1, 0, v12
	v_lshrrev_b32_e32 v21, 8, v13
	v_bfe_u32 v26, v13, 20, 11
	s_or_b32 vcc_lo, s0, vcc_lo
	v_cvt_f64_f32_e32 v[19:20], v19
	s_wait_alu 0xfffe
	v_add_co_ci_u32_e32 v24, vcc_lo, 0, v24, vcc_lo
	v_cndmask_b32_e64 v12, 0, 1, s1
	v_cmp_ne_u32_e32 vcc_lo, 0, v23
	v_and_or_b32 v10, 0x1ff, v11, v10
	v_mul_f16_e32 v14, v96, v14
	s_mul_u64 s[2:3], s[4:5], 0x9c0
	v_and_or_b32 v12, 0xffe, v21, v12
	s_wait_alu 0xfffd
	v_cndmask_b32_e64 v23, 0, 1, vcc_lo
	v_sub_nc_u32_e32 v21, 0x3f1, v26
	v_cmp_gt_i32_e32 vcc_lo, 31, v17
	v_fma_f16 v14, v89, v22, -v14
	v_or_b32_e32 v27, 0x1000, v12
	v_lshl_or_b32 v23, v23, 9, 0x7c00
	v_med3_i32 v21, v21, 0, 13
	s_wait_alu 0xfffd
	v_cndmask_b32_e32 v24, 0x7c00, v24, vcc_lo
	v_cmp_eq_u32_e32 vcc_lo, 0x40f, v17
	v_cvt_f32_f16_e32 v14, v14
	v_bfe_u32 v22, v11, 20, 11
	v_add_nc_u32_e32 v26, 0xfffffc10, v26
	v_lshrrev_b32_e32 v13, 16, v13
	s_wait_alu 0xfffd
	v_cndmask_b32_e32 v17, v24, v23, vcc_lo
	v_lshrrev_b32_e32 v23, v21, v27
	v_and_or_b32 v24, 0x8000, v16, v15
	v_cmp_ne_u32_e32 vcc_lo, 0, v10
	v_lshrrev_b32_e32 v16, 8, v11
	v_and_or_b32 v28, 0x8000, v18, v17
	v_lshlrev_b32_e32 v15, v21, v23
	v_sub_nc_u32_e32 v21, 0x3f1, v22
	s_wait_alu 0xfffd
	v_cndmask_b32_e64 v10, 0, 1, vcc_lo
	s_delay_alu instid0(VALU_DEP_3) | instskip(NEXT) | instid1(VALU_DEP_2)
	v_cmp_ne_u32_e32 vcc_lo, v15, v27
	v_and_or_b32 v10, 0xffe, v16, v10
	s_wait_alu 0xfffd
	v_cndmask_b32_e64 v15, 0, 1, vcc_lo
	v_mul_f64_e32 v[16:17], s[8:9], v[19:20]
	v_cmp_gt_i32_e32 vcc_lo, 1, v26
	v_or_b32_e32 v27, 0x1000, v10
	v_med3_i32 v20, v21, 0, 13
	v_or_b32_e32 v18, v23, v15
	v_cvt_f64_f32_e32 v[14:15], v14
	v_lshl_or_b32 v23, v26, 12, v12
	v_and_b32_e32 v21, 0xffff, v24
	v_lshrrev_b32_e32 v24, v20, v27
	s_wait_alu 0xfffd
	s_delay_alu instid0(VALU_DEP_3)
	v_cndmask_b32_e32 v23, v23, v18, vcc_lo
	ds_load_2addr_b32 v[18:19], v83 offset0:104 offset1:156
	v_add_co_u32 v8, vcc_lo, v6, v8
	s_wait_alu 0xfffd
	v_add_co_ci_u32_e32 v9, vcc_lo, v7, v9, vcc_lo
	v_and_b32_e32 v29, 7, v23
	v_lshlrev_b32_e32 v30, v20, v24
	s_wait_alu 0xfffe
	v_add_co_u32 v20, vcc_lo, v8, s2
	v_lshl_or_b32 v28, v28, 16, v21
	s_wait_alu 0xfffd
	v_add_co_ci_u32_e32 v21, vcc_lo, s3, v9, vcc_lo
	v_cmp_lt_i32_e32 vcc_lo, 5, v29
	v_cmp_eq_u32_e64 s0, 3, v29
	v_lshrrev_b32_e32 v23, 2, v23
	v_cmp_ne_u32_e64 s1, v30, v27
	v_add_nc_u32_e32 v29, 0xfffffc10, v22
	s_delay_alu instid0(VALU_DEP_4) | instskip(NEXT) | instid1(VALU_DEP_2)
	s_or_b32 vcc_lo, s0, vcc_lo
	v_cndmask_b32_e64 v27, 0, 1, s1
	s_wait_dscnt 0x0
	v_lshrrev_b32_e32 v30, 16, v18
	s_wait_alu 0xfffe
	v_add_co_ci_u32_e32 v22, vcc_lo, 0, v23, vcc_lo
	v_cmp_gt_i32_e32 vcc_lo, 31, v26
	v_or_b32_e32 v23, v24, v27
	v_mul_f16_e32 v27, v95, v30
	v_lshl_or_b32 v24, v29, 12, v10
	v_and_or_b32 v16, 0x1ff, v17, v16
	s_wait_alu 0xfffd
	v_cndmask_b32_e32 v31, 0x7c00, v22, vcc_lo
	v_cmp_gt_i32_e32 vcc_lo, 1, v29
	v_mul_f64_e32 v[14:15], s[8:9], v[14:15]
	v_fmac_f16_e32 v27, v85, v18
	v_bfe_u32 v33, v17, 20, 11
	v_cmp_eq_u32_e64 s1, 0x40f, v26
	s_wait_alu 0xfffd
	v_cndmask_b32_e32 v24, v24, v23, vcc_lo
	v_cmp_ne_u32_e32 vcc_lo, 0, v12
	v_cvt_f32_f16_e32 v22, v27
	v_lshrrev_b32_e32 v27, 8, v17
	v_mul_f16_e32 v18, v95, v18
	v_and_b32_e32 v32, 7, v24
	s_wait_alu 0xfffd
	v_cndmask_b32_e64 v12, 0, 1, vcc_lo
	v_cmp_ne_u32_e32 vcc_lo, 0, v16
	v_cvt_f64_f32_e32 v[22:23], v22
	v_lshrrev_b32_e32 v24, 2, v24
	v_cmp_eq_u32_e64 s0, 3, v32
	v_lshl_or_b32 v12, v12, 9, 0x7c00
	s_wait_alu 0xfffd
	v_cndmask_b32_e64 v16, 0, 1, vcc_lo
	v_cmp_lt_i32_e32 vcc_lo, 5, v32
	v_lshrrev_b32_e32 v17, 16, v17
	s_wait_alu 0xf1ff
	v_cndmask_b32_e64 v12, v31, v12, s1
	v_and_or_b32 v16, 0xffe, v27, v16
	v_sub_nc_u32_e32 v27, 0x3f1, v33
	s_or_b32 vcc_lo, s0, vcc_lo
	s_wait_alu 0xfffe
	v_add_co_ci_u32_e32 v24, vcc_lo, 0, v24, vcc_lo
	v_or_b32_e32 v26, 0x1000, v16
	v_med3_i32 v27, v27, 0, 13
	v_cmp_ne_u32_e32 vcc_lo, 0, v10
	v_and_or_b32 v32, 0x8000, v13, v12
	s_delay_alu instid0(VALU_DEP_3) | instskip(SKIP_3) | instid1(VALU_DEP_3)
	v_lshrrev_b32_e32 v31, v27, v26
	s_wait_alu 0xfffd
	v_cndmask_b32_e64 v10, 0, 1, vcc_lo
	v_cmp_gt_i32_e32 vcc_lo, 31, v29
	v_lshlrev_b32_e32 v12, v27, v31
	s_delay_alu instid0(VALU_DEP_3)
	v_lshl_or_b32 v10, v10, 9, 0x7c00
	s_wait_alu 0xfffd
	v_cndmask_b32_e32 v24, 0x7c00, v24, vcc_lo
	v_cmp_eq_u32_e32 vcc_lo, 0x40f, v29
	v_and_or_b32 v13, 0x1ff, v15, v14
	v_lshrrev_b32_e32 v27, 8, v15
	v_bfe_u32 v29, v15, 20, 11
	v_lshrrev_b32_e32 v14, 16, v11
	s_wait_alu 0xfffd
	v_cndmask_b32_e32 v24, v24, v10, vcc_lo
	v_cmp_ne_u32_e32 vcc_lo, v12, v26
	v_fma_f16 v10, v85, v30, -v18
	v_add_nc_u32_e32 v30, 0xfffffc10, v33
	s_delay_alu instid0(VALU_DEP_4)
	v_and_or_b32 v14, 0x8000, v14, v24
	s_wait_alu 0xfffd
	v_cndmask_b32_e64 v18, 0, 1, vcc_lo
	v_cmp_ne_u32_e32 vcc_lo, 0, v13
	v_cvt_f32_f16_e32 v10, v10
	v_mul_f64_e32 v[12:13], s[8:9], v[22:23]
	v_sub_nc_u32_e32 v22, 0x3f1, v29
	v_or_b32_e32 v18, v31, v18
	s_wait_alu 0xfffd
	v_cndmask_b32_e64 v26, 0, 1, vcc_lo
	v_cvt_f64_f32_e32 v[10:11], v10
	v_lshl_or_b32 v23, v30, 12, v16
	v_cmp_gt_i32_e32 vcc_lo, 1, v30
	v_and_b32_e32 v31, 0xffff, v32
	v_and_or_b32 v26, 0xffe, v27, v26
	v_med3_i32 v27, v22, 0, 13
	s_wait_alu 0xfffd
	v_cndmask_b32_e32 v18, v23, v18, vcc_lo
	ds_load_2addr_b32 v[22:23], v5 offset0:88 offset1:140
	v_or_b32_e32 v24, 0x1000, v26
	s_clause 0x1
	global_store_b32 v[8:9], v25, off
	global_store_b32 v[20:21], v28, off
	v_lshl_or_b32 v28, v14, 16, v31
	v_and_b32_e32 v8, 7, v18
	v_add_nc_u32_e32 v14, 0xfffffc10, v29
	v_lshrrev_b32_e32 v5, v27, v24
	s_delay_alu instid0(VALU_DEP_3) | instskip(SKIP_1) | instid1(VALU_DEP_3)
	v_cmp_lt_i32_e32 vcc_lo, 5, v8
	v_cmp_eq_u32_e64 s0, 3, v8
	v_lshlrev_b32_e32 v9, v27, v5
	v_lshrrev_b32_e32 v8, 2, v18
	s_delay_alu instid0(VALU_DEP_3) | instskip(NEXT) | instid1(VALU_DEP_2)
	s_or_b32 vcc_lo, s0, vcc_lo
	v_cmp_ne_u32_e64 s1, v9, v24
	s_wait_alu 0xfffe
	s_delay_alu instid0(VALU_DEP_2)
	v_add_co_ci_u32_e32 v18, vcc_lo, 0, v8, vcc_lo
	v_cmp_ne_u32_e32 vcc_lo, 0, v16
	v_lshl_or_b32 v8, v14, 12, v26
	s_wait_alu 0xf1ff
	v_cndmask_b32_e64 v9, 0, 1, s1
	s_wait_dscnt 0x0
	v_lshrrev_b32_e32 v24, 16, v22
	v_cmp_eq_u32_e64 s1, 0x40f, v30
	s_wait_alu 0xfffd
	v_cndmask_b32_e64 v16, 0, 1, vcc_lo
	v_cmp_gt_i32_e32 vcc_lo, 1, v14
	v_or_b32_e32 v5, v5, v9
	v_lshrrev_b32_e32 v25, 8, v13
	v_bfe_u32 v27, v13, 20, 11
	v_lshl_or_b32 v16, v16, 9, 0x7c00
	s_wait_alu 0xfffd
	v_cndmask_b32_e32 v5, v8, v5, vcc_lo
	v_mul_f64_e32 v[8:9], s[8:9], v[10:11]
	v_mul_f16_e32 v10, v92, v24
	v_and_or_b32 v11, 0x1ff, v13, v12
	v_cmp_gt_i32_e32 vcc_lo, 31, v30
	v_lshrrev_b32_e32 v13, 16, v13
	s_delay_alu instid0(VALU_DEP_4)
	v_fmac_f16_e32 v10, v82, v22
	s_wait_alu 0xfffd
	v_cndmask_b32_e32 v12, 0x7c00, v18, vcc_lo
	v_cmp_ne_u32_e32 vcc_lo, 0, v11
	v_and_b32_e32 v18, 7, v5
	v_cvt_f32_f16_e32 v10, v10
	v_lshrrev_b32_e32 v5, 2, v5
	s_wait_alu 0xf1ff
	v_cndmask_b32_e64 v12, v12, v16, s1
	s_wait_alu 0xfffd
	v_cndmask_b32_e64 v11, 0, 1, vcc_lo
	v_cmp_lt_i32_e32 vcc_lo, 5, v18
	v_cmp_eq_u32_e64 s0, 3, v18
	v_and_or_b32 v12, 0x8000, v17, v12
	s_delay_alu instid0(VALU_DEP_4)
	v_and_or_b32 v18, 0xffe, v25, v11
	v_cvt_f64_f32_e32 v[10:11], v10
	v_sub_nc_u32_e32 v25, 0x3f1, v27
	s_or_b32 vcc_lo, s0, vcc_lo
	v_and_b32_e32 v12, 0xffff, v12
	s_wait_alu 0xfffe
	v_add_co_ci_u32_e32 v5, vcc_lo, 0, v5, vcc_lo
	v_or_b32_e32 v16, 0x1000, v18
	v_med3_i32 v25, v25, 0, 13
	v_cmp_ne_u32_e32 vcc_lo, 0, v26
	s_delay_alu instid0(VALU_DEP_2) | instskip(SKIP_3) | instid1(VALU_DEP_3)
	v_lshrrev_b32_e32 v29, v25, v16
	s_wait_alu 0xfffd
	v_cndmask_b32_e64 v26, 0, 1, vcc_lo
	v_cmp_gt_i32_e32 vcc_lo, 31, v14
	v_lshlrev_b32_e32 v17, v25, v29
	s_delay_alu instid0(VALU_DEP_3)
	v_lshl_or_b32 v26, v26, 9, 0x7c00
	s_wait_alu 0xfffd
	v_cndmask_b32_e32 v5, 0x7c00, v5, vcc_lo
	v_cmp_eq_u32_e32 vcc_lo, 0x40f, v14
	v_mul_f16_e32 v14, v92, v22
	v_and_or_b32 v8, 0x1ff, v9, v8
	v_lshrrev_b32_e32 v25, 16, v15
	v_bfe_u32 v22, v9, 20, 11
	s_wait_alu 0xfffd
	v_cndmask_b32_e32 v5, v5, v26, vcc_lo
	v_cmp_ne_u32_e32 vcc_lo, v17, v16
	v_fma_f16 v14, v82, v24, -v14
	v_lshrrev_b32_e32 v16, 8, v9
	v_add_nc_u32_e32 v26, 0xfffffc10, v27
	v_and_or_b32 v5, 0x8000, v25, v5
	s_wait_alu 0xfffd
	v_cndmask_b32_e64 v15, 0, 1, vcc_lo
	v_cmp_ne_u32_e32 vcc_lo, 0, v8
	v_cvt_f32_f16_e32 v14, v14
	v_lshl_or_b32 v24, v26, 12, v18
	v_lshl_or_b32 v5, v5, 16, v12
	v_or_b32_e32 v17, v29, v15
	s_wait_alu 0xfffd
	v_cndmask_b32_e64 v8, 0, 1, vcc_lo
	v_mul_f64_e32 v[10:11], s[8:9], v[10:11]
	v_cvt_f64_f32_e32 v[14:15], v14
	v_cmp_gt_i32_e32 vcc_lo, 1, v26
	s_delay_alu instid0(VALU_DEP_4)
	v_and_or_b32 v8, 0xffe, v16, v8
	v_sub_nc_u32_e32 v16, 0x3f1, v22
	v_add_nc_u32_e32 v22, 0xfffffc10, v22
	s_wait_alu 0xfffd
	v_cndmask_b32_e32 v24, v24, v17, vcc_lo
	v_or_b32_e32 v27, 0x1000, v8
	v_med3_i32 v29, v16, 0, 13
	v_add_co_u32 v16, vcc_lo, v20, s6
	s_wait_alu 0xfffd
	v_add_co_ci_u32_e32 v17, vcc_lo, s7, v21, vcc_lo
	s_delay_alu instid0(VALU_DEP_3)
	v_lshrrev_b32_e32 v25, v29, v27
	v_and_b32_e32 v12, 7, v24
	v_add_co_u32 v20, vcc_lo, v16, s2
	s_wait_alu 0xfffd
	v_add_co_ci_u32_e32 v21, vcc_lo, s3, v17, vcc_lo
	v_lshlrev_b32_e32 v29, v29, v25
	v_cmp_lt_i32_e32 vcc_lo, 5, v12
	v_cmp_eq_u32_e64 s0, 3, v12
	v_lshrrev_b32_e32 v12, 2, v24
	s_clause 0x1
	global_store_b32 v[16:17], v28, off
	global_store_b32 v[20:21], v5, off
	v_cmp_ne_u32_e64 s1, v29, v27
	v_lshrrev_b32_e32 v27, 16, v19
	s_or_b32 vcc_lo, s0, vcc_lo
	s_wait_alu 0xfffe
	v_add_co_ci_u32_e32 v12, vcc_lo, 0, v12, vcc_lo
	v_cndmask_b32_e64 v24, 0, 1, s1
	v_cmp_ne_u32_e32 vcc_lo, 0, v18
	v_mul_f16_e32 v29, v91, v27
	s_delay_alu instid0(VALU_DEP_3)
	v_or_b32_e32 v24, v25, v24
	v_lshl_or_b32 v25, v22, 12, v8
	s_wait_alu 0xfffd
	v_cndmask_b32_e64 v18, 0, 1, vcc_lo
	v_cmp_gt_i32_e32 vcc_lo, 1, v22
	v_fmac_f16_e32 v29, v80, v19
	v_and_or_b32 v10, 0x1ff, v11, v10
	v_mul_f64_e32 v[14:15], s[8:9], v[14:15]
	v_lshl_or_b32 v18, v18, 9, 0x7c00
	s_wait_alu 0xfffd
	v_cndmask_b32_e32 v30, v25, v24, vcc_lo
	v_cmp_gt_i32_e32 vcc_lo, 31, v26
	v_cvt_f32_f16_e32 v24, v29
	v_lshrrev_b32_e32 v31, 8, v11
	v_bfe_u32 v32, v11, 20, 11
	s_wait_alu 0xfffd
	v_dual_cndmask_b32 v12, 0x7c00, v12 :: v_dual_and_b32 v29, 7, v30
	v_cmp_ne_u32_e32 vcc_lo, 0, v10
	v_cvt_f64_f32_e32 v[24:25], v24
	v_mul_f16_e32 v19, v91, v19
	s_delay_alu instid0(VALU_DEP_4)
	v_cmp_eq_u32_e64 s0, 3, v29
	s_wait_alu 0xfffd
	v_cndmask_b32_e64 v10, 0, 1, vcc_lo
	v_cmp_eq_u32_e32 vcc_lo, 0x40f, v26
	v_lshrrev_b32_e32 v26, 2, v30
	v_fma_f16 v19, v80, v27, -v19
	s_delay_alu instid0(VALU_DEP_4)
	v_and_or_b32 v10, 0xffe, v31, v10
	s_wait_alu 0xfffd
	v_cndmask_b32_e32 v12, v12, v18, vcc_lo
	v_cmp_lt_i32_e32 vcc_lo, 5, v29
	v_sub_nc_u32_e32 v18, 0x3f1, v32
	v_cvt_f32_f16_e32 v19, v19
	v_or_b32_e32 v29, 0x1000, v10
	v_and_or_b32 v30, 0x8000, v13, v12
	s_or_b32 vcc_lo, s0, vcc_lo
	v_med3_i32 v18, v18, 0, 13
	s_wait_alu 0xfffe
	v_add_co_ci_u32_e32 v26, vcc_lo, 0, v26, vcc_lo
	v_cmp_ne_u32_e32 vcc_lo, 0, v8
	v_cvt_f64_f32_e32 v[12:13], v19
	v_lshrrev_b32_e32 v27, v18, v29
	s_wait_alu 0xfffd
	v_cndmask_b32_e64 v8, 0, 1, vcc_lo
	v_cmp_gt_i32_e32 vcc_lo, 31, v22
	s_delay_alu instid0(VALU_DEP_3) | instskip(NEXT) | instid1(VALU_DEP_3)
	v_lshlrev_b32_e32 v18, v18, v27
	v_lshl_or_b32 v8, v8, 9, 0x7c00
	s_wait_alu 0xfffd
	v_cndmask_b32_e32 v26, 0x7c00, v26, vcc_lo
	v_cmp_eq_u32_e32 vcc_lo, 0x40f, v22
	v_add_nc_u32_e32 v22, 0xfffffc10, v32
	s_wait_alu 0xfffd
	s_delay_alu instid0(VALU_DEP_3)
	v_cndmask_b32_e32 v19, v26, v8, vcc_lo
	v_and_or_b32 v8, 0x1ff, v15, v14
	v_cmp_ne_u32_e32 vcc_lo, v18, v29
	v_lshrrev_b32_e32 v14, 16, v9
	s_wait_alu 0xfffd
	v_cndmask_b32_e64 v18, 0, 1, vcc_lo
	v_cmp_ne_u32_e32 vcc_lo, 0, v8
	v_mul_f64_e32 v[8:9], s[8:9], v[24:25]
	v_lshrrev_b32_e32 v24, 8, v15
	v_bfe_u32 v25, v15, 20, 11
	v_and_or_b32 v14, 0x8000, v14, v19
	s_wait_alu 0xfffd
	v_cndmask_b32_e64 v26, 0, 1, vcc_lo
	v_or_b32_e32 v18, v27, v18
	v_lshl_or_b32 v19, v22, 12, v10
	v_cmp_gt_i32_e32 vcc_lo, 1, v22
	v_and_b32_e32 v27, 0xffff, v30
	v_and_or_b32 v24, 0xffe, v24, v26
	v_sub_nc_u32_e32 v26, 0x3f1, v25
	v_lshrrev_b32_e32 v15, 16, v15
	s_wait_alu 0xfffd
	v_cndmask_b32_e32 v18, v19, v18, vcc_lo
	v_lshl_or_b32 v5, v14, 16, v27
	v_or_b32_e32 v19, 0x1000, v24
	v_med3_i32 v26, v26, 0, 13
	v_add_co_u32 v16, vcc_lo, v20, s6
	v_and_b32_e32 v14, 7, v18
	s_wait_alu 0xfffd
	v_add_co_ci_u32_e32 v17, vcc_lo, s7, v21, vcc_lo
	v_lshrrev_b32_e32 v27, v26, v19
	v_lshrrev_b32_e32 v20, 16, v23
	v_cmp_lt_i32_e32 vcc_lo, 5, v14
	v_cmp_eq_u32_e64 s0, 3, v14
	v_mul_f64_e32 v[12:13], s[8:9], v[12:13]
	v_lshlrev_b32_e32 v21, v26, v27
	v_lshrrev_b32_e32 v14, 2, v18
	v_mul_f16_e32 v18, v88, v20
	s_or_b32 vcc_lo, s0, vcc_lo
	global_store_b32 v[16:17], v5, off
	v_cmp_ne_u32_e64 s1, v21, v19
	s_wait_alu 0xfffe
	v_add_co_ci_u32_e32 v14, vcc_lo, 0, v14, vcc_lo
	v_add_nc_u32_e32 v21, 0xfffffc10, v25
	v_cmp_ne_u32_e32 vcc_lo, 0, v10
	s_wait_alu 0xf1ff
	v_cndmask_b32_e64 v19, 0, 1, s1
	v_fmac_f16_e32 v18, v78, v23
	v_and_or_b32 v8, 0x1ff, v9, v8
	v_lshl_or_b32 v25, v21, 12, v24
	s_wait_alu 0xfffd
	v_cndmask_b32_e64 v10, 0, 1, vcc_lo
	v_or_b32_e32 v19, v27, v19
	v_cmp_gt_i32_e32 vcc_lo, 1, v21
	v_cvt_f32_f16_e32 v18, v18
	v_lshrrev_b32_e32 v26, 8, v9
	v_bfe_u32 v27, v9, 20, 11
	v_lshl_or_b32 v10, v10, 9, 0x7c00
	s_wait_alu 0xfffd
	v_cndmask_b32_e32 v25, v25, v19, vcc_lo
	v_cmp_ne_u32_e32 vcc_lo, 0, v8
	v_cvt_f64_f32_e32 v[18:19], v18
	v_cmp_eq_u32_e64 s1, 0x40f, v22
	v_mul_f16_e32 v23, v88, v23
	v_and_b32_e32 v28, 7, v25
	s_wait_alu 0xfffd
	v_cndmask_b32_e64 v8, 0, 1, vcc_lo
	v_cmp_gt_i32_e32 vcc_lo, 31, v22
	v_lshrrev_b32_e32 v22, 16, v11
	v_fma_f16 v20, v78, v20, -v23
	v_cmp_eq_u32_e64 s0, 3, v28
	v_and_or_b32 v8, 0xffe, v26, v8
	s_wait_alu 0xfffd
	v_cndmask_b32_e32 v14, 0x7c00, v14, vcc_lo
	v_sub_nc_u32_e32 v26, 0x3f1, v27
	v_cmp_lt_i32_e32 vcc_lo, 5, v28
	v_add_nc_u32_e32 v27, 0xfffffc10, v27
	v_or_b32_e32 v28, 0x1000, v8
	s_wait_alu 0xf1ff
	v_cndmask_b32_e64 v14, v14, v10, s1
	v_lshrrev_b32_e32 v10, 2, v25
	v_med3_i32 v26, v26, 0, 13
	s_or_b32 vcc_lo, s0, vcc_lo
	v_cvt_f32_f16_e32 v20, v20
	v_and_or_b32 v14, 0x8000, v22, v14
	s_wait_alu 0xfffe
	v_add_co_ci_u32_e32 v29, vcc_lo, 0, v10, vcc_lo
	v_lshrrev_b32_e32 v25, v26, v28
	v_and_or_b32 v10, 0x1ff, v13, v12
	v_cmp_ne_u32_e32 vcc_lo, 0, v24
	v_lshrrev_b32_e32 v24, 8, v13
	ds_load_2addr_b32 v[4:5], v4 offset0:80 offset1:132
	v_lshlrev_b32_e32 v11, v26, v25
	v_bfe_u32 v26, v13, 20, 11
	s_wait_alu 0xfffd
	v_cndmask_b32_e64 v12, 0, 1, vcc_lo
	v_cmp_ne_u32_e32 vcc_lo, 0, v10
	v_and_b32_e32 v14, 0xffff, v14
	v_lshrrev_b32_e32 v13, 16, v13
	v_add_co_u32 v16, s1, v16, s2
	s_wait_alu 0xfffd
	v_cndmask_b32_e64 v10, 0, 1, vcc_lo
	v_cmp_ne_u32_e32 vcc_lo, v11, v28
	v_sub_nc_u32_e32 v28, 0x3f1, v26
	v_lshl_or_b32 v12, v12, 9, 0x7c00
	s_wait_alu 0xf1ff
	v_add_co_ci_u32_e64 v17, s1, s3, v17, s1
	s_wait_alu 0xfffd
	v_cndmask_b32_e64 v23, 0, 1, vcc_lo
	v_and_or_b32 v24, 0xffe, v24, v10
	v_cmp_gt_i32_e32 vcc_lo, 31, v21
	v_mul_f64_e32 v[10:11], s[8:9], v[18:19]
	v_cvt_f64_f32_e32 v[18:19], v20
	v_or_b32_e32 v23, v25, v23
	v_lshl_or_b32 v25, v27, 12, v8
	v_or_b32_e32 v30, 0x1000, v24
	v_med3_i32 v20, v28, 0, 13
	s_wait_alu 0xfffd
	v_cndmask_b32_e32 v28, 0x7c00, v29, vcc_lo
	v_cmp_gt_i32_e32 vcc_lo, 1, v27
	s_wait_alu 0xfffd
	v_cndmask_b32_e32 v23, v25, v23, vcc_lo
	v_lshrrev_b32_e32 v25, v20, v30
	v_cmp_eq_u32_e32 vcc_lo, 0x40f, v21
	s_delay_alu instid0(VALU_DEP_3) | instskip(NEXT) | instid1(VALU_DEP_3)
	v_and_b32_e32 v21, 7, v23
	v_lshlrev_b32_e32 v20, v20, v25
	s_wait_alu 0xfffd
	v_cndmask_b32_e32 v12, v28, v12, vcc_lo
	s_delay_alu instid0(VALU_DEP_3) | instskip(NEXT) | instid1(VALU_DEP_3)
	v_cmp_lt_i32_e32 vcc_lo, 5, v21
	v_cmp_ne_u32_e64 s0, v20, v30
	s_delay_alu instid0(VALU_DEP_3) | instskip(SKIP_2) | instid1(VALU_DEP_3)
	v_and_or_b32 v12, 0x8000, v15, v12
	v_add_nc_u32_e32 v20, 0xfffffc10, v26
	s_wait_alu 0xf1ff
	v_cndmask_b32_e64 v15, 0, 1, s0
	v_cmp_eq_u32_e64 s0, 3, v21
	v_lshrrev_b32_e32 v21, 2, v23
	v_lshl_or_b32 v22, v20, 12, v24
	s_wait_dscnt 0x0
	v_lshrrev_b32_e32 v23, 16, v4
	v_or_b32_e32 v15, v25, v15
	s_or_b32 vcc_lo, s0, vcc_lo
	v_lshl_or_b32 v25, v12, 16, v14
	s_wait_alu 0xfffe
	v_add_co_ci_u32_e32 v21, vcc_lo, 0, v21, vcc_lo
	v_cmp_gt_i32_e32 vcc_lo, 1, v20
	v_and_or_b32 v10, 0x1ff, v11, v10
	v_bfe_u32 v26, v11, 20, 11
	s_wait_alu 0xfffd
	v_cndmask_b32_e32 v12, v22, v15, vcc_lo
	v_cmp_gt_i32_e32 vcc_lo, 31, v27
	v_mul_f64_e32 v[14:15], s[8:9], v[18:19]
	v_lshrrev_b32_e32 v18, 8, v11
	v_mul_f16_e32 v19, v86, v23
	s_wait_alu 0xfffd
	v_dual_cndmask_b32 v21, 0x7c00, v21 :: v_dual_and_b32 v22, 7, v12
	v_cmp_ne_u32_e32 vcc_lo, 0, v8
	v_lshrrev_b32_e32 v12, 2, v12
	v_fmac_f16_e32 v19, v76, v4
	s_delay_alu instid0(VALU_DEP_4) | instskip(SKIP_4) | instid1(VALU_DEP_3)
	v_cmp_eq_u32_e64 s0, 3, v22
	v_mul_f16_e32 v4, v86, v4
	s_wait_alu 0xfffd
	v_cndmask_b32_e64 v8, 0, 1, vcc_lo
	v_cmp_ne_u32_e32 vcc_lo, 0, v10
	v_fma_f16 v4, v76, v23, -v4
	s_delay_alu instid0(VALU_DEP_3) | instskip(SKIP_4) | instid1(VALU_DEP_3)
	v_lshl_or_b32 v8, v8, 9, 0x7c00
	s_wait_alu 0xfffd
	v_cndmask_b32_e64 v10, 0, 1, vcc_lo
	v_cmp_lt_i32_e32 vcc_lo, 5, v22
	v_cvt_f32_f16_e32 v4, v4
	v_and_or_b32 v10, 0xffe, v18, v10
	v_sub_nc_u32_e32 v18, 0x3f1, v26
	s_or_b32 vcc_lo, s0, vcc_lo
	s_wait_alu 0xfffe
	v_add_co_ci_u32_e32 v12, vcc_lo, 0, v12, vcc_lo
	s_delay_alu instid0(VALU_DEP_2) | instskip(SKIP_3) | instid1(VALU_DEP_3)
	v_med3_i32 v28, v18, 0, 13
	v_cvt_f32_f16_e32 v18, v19
	v_cmp_ne_u32_e32 vcc_lo, 0, v24
	v_or_b32_e32 v22, 0x1000, v10
	v_cvt_f64_f32_e32 v[18:19], v18
	s_wait_alu 0xfffd
	v_cndmask_b32_e64 v24, 0, 1, vcc_lo
	v_cmp_eq_u32_e32 vcc_lo, 0x40f, v27
	v_lshrrev_b32_e32 v29, v28, v22
	v_lshrrev_b32_e32 v27, 16, v9
	v_and_or_b32 v9, 0x1ff, v15, v14
	s_wait_alu 0xfffd
	v_cndmask_b32_e32 v21, v21, v8, vcc_lo
	v_cmp_gt_i32_e32 vcc_lo, 31, v20
	s_wait_alu 0xfffd
	v_cndmask_b32_e32 v8, 0x7c00, v12, vcc_lo
	v_lshl_or_b32 v12, v24, 9, 0x7c00
	v_lshlrev_b32_e32 v24, v28, v29
	v_cmp_eq_u32_e32 vcc_lo, 0x40f, v20
	v_add_nc_u32_e32 v20, 0xfffffc10, v26
	v_bfe_u32 v26, v15, 20, 11
	v_lshrrev_b32_e32 v28, 16, v11
	s_wait_alu 0xfffd
	v_cndmask_b32_e32 v12, v8, v12, vcc_lo
	v_cmp_ne_u32_e32 vcc_lo, v24, v22
	v_lshl_or_b32 v22, v20, 12, v10
	v_lshrrev_b32_e32 v24, 8, v15
	v_lshrrev_b32_e32 v15, 16, v15
	s_wait_alu 0xfffd
	v_cndmask_b32_e64 v8, 0, 1, vcc_lo
	v_cmp_ne_u32_e32 vcc_lo, 0, v9
	s_delay_alu instid0(VALU_DEP_2)
	v_or_b32_e32 v14, v29, v8
	v_cvt_f64_f32_e32 v[8:9], v4
	s_wait_alu 0xfffd
	v_cndmask_b32_e64 v23, 0, 1, vcc_lo
	v_cmp_gt_i32_e32 vcc_lo, 1, v20
	v_mul_f64_e32 v[18:19], s[8:9], v[18:19]
	s_wait_alu 0xfffd
	v_cndmask_b32_e32 v4, v22, v14, vcc_lo
	v_and_or_b32 v14, 0x8000, v27, v21
	v_and_or_b32 v22, 0xffe, v24, v23
	v_sub_nc_u32_e32 v21, 0x3f1, v26
	v_and_or_b32 v23, 0x8000, v13, v12
	v_and_b32_e32 v24, 7, v4
	ds_load_2addr_b32 v[12:13], v3 offset0:64 offset1:116
	v_or_b32_e32 v27, 0x1000, v22
	v_med3_i32 v21, v21, 0, 13
	v_lshrrev_b32_e32 v4, 2, v4
	v_cmp_lt_i32_e32 vcc_lo, 5, v24
	v_cmp_eq_u32_e64 s0, 3, v24
	v_and_b32_e32 v14, 0xffff, v14
	v_lshrrev_b32_e32 v24, v21, v27
	v_add_nc_u32_e32 v26, 0xfffffc10, v26
	s_delay_alu instid0(VALU_DEP_4) | instskip(NEXT) | instid1(VALU_DEP_3)
	s_or_b32 vcc_lo, s0, vcc_lo
	v_lshl_or_b32 v14, v23, 16, v14
	s_wait_alu 0xfffe
	v_add_co_ci_u32_e32 v4, vcc_lo, 0, v4, vcc_lo
	v_lshlrev_b32_e32 v21, v21, v24
	v_cmp_ne_u32_e32 vcc_lo, 0, v10
	s_wait_alu 0xfffd
	v_cndmask_b32_e64 v10, 0, 1, vcc_lo
	s_delay_alu instid0(VALU_DEP_3)
	v_cmp_ne_u32_e32 vcc_lo, v21, v27
	s_wait_dscnt 0x0
	v_lshrrev_b32_e32 v23, 16, v12
	v_mul_f64_e32 v[8:9], s[8:9], v[8:9]
	s_wait_alu 0xfffd
	v_cndmask_b32_e64 v21, 0, 1, vcc_lo
	v_cmp_gt_i32_e32 vcc_lo, 31, v20
	v_mul_f16_e32 v27, v84, v23
	v_lshl_or_b32 v10, v10, 9, 0x7c00
	v_and_or_b32 v18, 0x1ff, v19, v18
	v_or_b32_e32 v21, v24, v21
	s_wait_alu 0xfffd
	v_cndmask_b32_e32 v4, 0x7c00, v4, vcc_lo
	v_lshl_or_b32 v24, v26, 12, v22
	v_cmp_gt_i32_e32 vcc_lo, 1, v26
	v_fmac_f16_e32 v27, v75, v12
	v_cmp_ne_u32_e64 s1, 0, v18
	v_mul_f16_e32 v12, v84, v12
	s_wait_alu 0xfffd
	v_cndmask_b32_e32 v24, v24, v21, vcc_lo
	v_cmp_eq_u32_e32 vcc_lo, 0x40f, v20
	v_cvt_f32_f16_e32 v20, v27
	s_wait_alu 0xf1ff
	v_cndmask_b32_e64 v18, 0, 1, s1
	v_lshrrev_b32_e32 v27, 8, v19
	s_wait_alu 0xfffd
	v_dual_cndmask_b32 v4, v4, v10 :: v_dual_and_b32 v29, 7, v24
	v_add_co_u32 v10, vcc_lo, v16, s6
	s_wait_alu 0xfffd
	v_add_co_ci_u32_e32 v11, vcc_lo, s7, v17, vcc_lo
	v_cvt_f64_f32_e32 v[20:21], v20
	v_cmp_lt_i32_e32 vcc_lo, 5, v29
	v_cmp_eq_u32_e64 s0, 3, v29
	v_lshrrev_b32_e32 v24, 2, v24
	v_and_or_b32 v4, 0x8000, v28, v4
	v_bfe_u32 v28, v19, 20, 11
	v_and_or_b32 v18, 0xffe, v27, v18
	s_or_b32 vcc_lo, s0, vcc_lo
	v_fma_f16 v12, v75, v23, -v12
	s_wait_alu 0xfffe
	v_add_co_ci_u32_e32 v24, vcc_lo, 0, v24, vcc_lo
	v_sub_nc_u32_e32 v27, 0x3f1, v28
	v_cmp_ne_u32_e32 vcc_lo, 0, v22
	v_or_b32_e32 v29, 0x1000, v18
	v_cvt_f32_f16_e32 v12, v12
	v_and_or_b32 v8, 0x1ff, v9, v8
	v_med3_i32 v27, v27, 0, 13
	s_wait_alu 0xfffd
	v_cndmask_b32_e64 v22, 0, 1, vcc_lo
	v_cmp_gt_i32_e32 vcc_lo, 31, v26
	v_add_nc_u32_e32 v28, 0xfffffc10, v28
	v_and_b32_e32 v4, 0xffff, v4
	v_lshrrev_b32_e32 v31, v27, v29
	v_lshl_or_b32 v30, v22, 9, 0x7c00
	s_wait_alu 0xfffd
	v_cndmask_b32_e32 v24, 0x7c00, v24, vcc_lo
	v_cmp_eq_u32_e32 vcc_lo, 0x40f, v26
	v_cvt_f64_f32_e32 v[22:23], v12
	v_lshrrev_b32_e32 v26, 8, v9
	global_store_b32 v[16:17], v25, off
	global_store_b32 v[10:11], v14, off
	v_lshrrev_b32_e32 v19, 16, v19
	s_wait_alu 0xfffd
	v_cndmask_b32_e32 v12, v24, v30, vcc_lo
	v_lshlrev_b32_e32 v24, v27, v31
	v_cmp_ne_u32_e32 vcc_lo, 0, v8
	v_bfe_u32 v27, v9, 20, 11
	s_delay_alu instid0(VALU_DEP_4)
	v_and_or_b32 v12, 0x8000, v15, v12
	s_wait_alu 0xfffd
	v_cndmask_b32_e64 v8, 0, 1, vcc_lo
	v_cmp_ne_u32_e32 vcc_lo, v24, v29
	v_mul_f64_e32 v[20:21], s[8:9], v[20:21]
	v_lshl_or_b32 v29, v28, 12, v18
	v_lshl_or_b32 v12, v12, 16, v4
	v_and_or_b32 v8, 0xffe, v26, v8
	s_wait_alu 0xfffd
	v_cndmask_b32_e64 v24, 0, 1, vcc_lo
	v_sub_nc_u32_e32 v26, 0x3f1, v27
	v_cmp_gt_i32_e32 vcc_lo, 1, v28
	v_add_nc_u32_e32 v25, 0xfffffc10, v27
	v_or_b32_e32 v30, 0x1000, v8
	v_or_b32_e32 v24, v31, v24
	v_med3_i32 v26, v26, 0, 13
	s_delay_alu instid0(VALU_DEP_4) | instskip(SKIP_1) | instid1(VALU_DEP_3)
	v_lshl_or_b32 v17, v25, 12, v8
	s_wait_alu 0xfffd
	v_cndmask_b32_e32 v15, v29, v24, vcc_lo
	s_delay_alu instid0(VALU_DEP_3) | instskip(SKIP_3) | instid1(VALU_DEP_3)
	v_lshrrev_b32_e32 v24, v26, v30
	v_add_co_u32 v10, vcc_lo, v10, s2
	s_wait_alu 0xfffd
	v_add_co_ci_u32_e32 v11, vcc_lo, s3, v11, vcc_lo
	v_lshlrev_b32_e32 v14, v26, v24
	v_and_b32_e32 v4, 7, v15
	global_store_b32 v[10:11], v12, off
	v_add_co_u32 v10, s1, v10, s6
	v_cmp_ne_u32_e64 s0, v14, v30
	v_cmp_lt_i32_e32 vcc_lo, 5, v4
	s_wait_alu 0xf1ff
	v_add_co_ci_u32_e64 v11, s1, s7, v11, s1
	s_delay_alu instid0(VALU_DEP_3) | instskip(SKIP_3) | instid1(VALU_DEP_4)
	v_cndmask_b32_e64 v16, 0, 1, s0
	v_cmp_eq_u32_e64 s0, 3, v4
	v_lshrrev_b32_e32 v4, 2, v15
	v_mul_f64_e32 v[14:15], s[8:9], v[22:23]
	v_or_b32_e32 v16, v24, v16
	s_delay_alu instid0(VALU_DEP_4)
	s_or_b32 vcc_lo, s0, vcc_lo
	v_lshrrev_b32_e32 v24, 8, v21
	s_wait_alu 0xfffe
	v_add_co_ci_u32_e32 v4, vcc_lo, 0, v4, vcc_lo
	v_cmp_ne_u32_e32 vcc_lo, 0, v18
	v_bfe_u32 v26, v21, 20, 11
	s_wait_alu 0xfffd
	v_cndmask_b32_e64 v18, 0, 1, vcc_lo
	v_cmp_gt_i32_e32 vcc_lo, 1, v25
	s_delay_alu instid0(VALU_DEP_2)
	v_lshl_or_b32 v18, v18, 9, 0x7c00
	s_wait_alu 0xfffd
	v_cndmask_b32_e32 v16, v17, v16, vcc_lo
	v_and_or_b32 v17, 0x1ff, v21, v20
	v_cmp_gt_i32_e32 vcc_lo, 31, v28
	v_lshrrev_b32_e32 v20, 16, v5
	s_delay_alu instid0(VALU_DEP_4)
	v_and_b32_e32 v22, 7, v16
	s_wait_alu 0xfffd
	v_cndmask_b32_e32 v4, 0x7c00, v4, vcc_lo
	v_cmp_ne_u32_e32 vcc_lo, 0, v17
	v_mul_f16_e32 v23, v81, v20
	v_cmp_eq_u32_e64 s0, 3, v22
	s_wait_alu 0xfffd
	v_cndmask_b32_e64 v17, 0, 1, vcc_lo
	v_cmp_eq_u32_e32 vcc_lo, 0x40f, v28
	v_fmac_f16_e32 v23, v72, v5
	v_mul_f16_e32 v5, v81, v5
	s_wait_alu 0xfffd
	v_cndmask_b32_e32 v4, v4, v18, vcc_lo
	v_cmp_lt_i32_e32 vcc_lo, 5, v22
	v_lshrrev_b32_e32 v22, 2, v16
	v_and_or_b32 v18, 0xffe, v24, v17
	v_sub_nc_u32_e32 v17, 0x3f1, v26
	v_cvt_f32_f16_e32 v23, v23
	s_or_b32 vcc_lo, s0, vcc_lo
	v_and_or_b32 v14, 0x1ff, v15, v14
	s_wait_alu 0xfffe
	v_add_co_ci_u32_e32 v22, vcc_lo, 0, v22, vcc_lo
	v_or_b32_e32 v24, 0x1000, v18
	v_med3_i32 v27, v17, 0, 13
	v_cmp_gt_i32_e32 vcc_lo, 31, v25
	v_cvt_f64_f32_e32 v[16:17], v23
	v_and_or_b32 v19, 0x8000, v19, v4
	v_bfe_u32 v28, v15, 20, 11
	v_lshrrev_b32_e32 v23, v27, v24
	s_wait_alu 0xfffd
	v_cndmask_b32_e32 v22, 0x7c00, v22, vcc_lo
	v_cmp_ne_u32_e32 vcc_lo, 0, v14
	v_fma_f16 v5, v72, v20, -v5
	v_add_nc_u32_e32 v20, 0xfffffc10, v26
	v_lshlrev_b32_e32 v4, v27, v23
	v_lshrrev_b32_e32 v27, 8, v15
	s_wait_alu 0xfffd
	v_cndmask_b32_e64 v14, 0, 1, vcc_lo
	v_cmp_ne_u32_e32 vcc_lo, 0, v8
	v_cvt_f32_f16_e32 v5, v5
	v_lshrrev_b32_e32 v15, 16, v15
	s_delay_alu instid0(VALU_DEP_4)
	v_and_or_b32 v14, 0xffe, v27, v14
	v_sub_nc_u32_e32 v27, 0x3f1, v28
	s_wait_alu 0xfffd
	v_cndmask_b32_e64 v8, 0, 1, vcc_lo
	v_cmp_ne_u32_e32 vcc_lo, v4, v24
	v_or_b32_e32 v24, 0x1000, v14
	v_med3_i32 v26, v27, 0, 13
	s_delay_alu instid0(VALU_DEP_4)
	v_lshl_or_b32 v8, v8, 9, 0x7c00
	s_wait_alu 0xfffd
	v_cndmask_b32_e64 v4, 0, 1, vcc_lo
	v_cmp_eq_u32_e32 vcc_lo, 0x40f, v25
	v_lshl_or_b32 v27, v20, 12, v18
	v_lshrrev_b32_e32 v29, v26, v24
	v_lshrrev_b32_e32 v25, 16, v9
	v_or_b32_e32 v23, v23, v4
	s_wait_alu 0xfffd
	v_cndmask_b32_e32 v22, v22, v8, vcc_lo
	v_cmp_gt_i32_e32 vcc_lo, 1, v20
	v_lshlrev_b32_e32 v26, v26, v29
	v_cvt_f64_f32_e32 v[4:5], v5
	s_delay_alu instid0(VALU_DEP_4)
	v_and_or_b32 v12, 0x8000, v25, v22
	s_wait_alu 0xfffd
	v_cndmask_b32_e32 v23, v27, v23, vcc_lo
	v_cmp_ne_u32_e32 vcc_lo, v26, v24
	v_add_nc_u32_e32 v22, 0xfffffc10, v28
	v_mul_f64_e32 v[8:9], s[8:9], v[16:17]
	v_and_b32_e32 v16, 0xffff, v19
	v_and_b32_e32 v17, 7, v23
	s_wait_alu 0xfffd
	v_cndmask_b32_e64 v19, 0, 1, vcc_lo
	v_cmp_gt_i32_e64 s1, 1, v22
	v_lshl_or_b32 v12, v12, 16, v16
	v_cmp_lt_i32_e32 vcc_lo, 5, v17
	s_delay_alu instid0(VALU_DEP_4)
	v_or_b32_e32 v16, v29, v19
	scratch_load_b32 v29, off, off th:TH_LOAD_LU ; 4-byte Folded Reload
	v_cmp_eq_u32_e64 s0, 3, v17
	v_lshl_or_b32 v17, v22, 12, v14
	v_lshrrev_b32_e32 v19, 2, v23
	v_lshrrev_b32_e32 v23, 16, v13
	global_store_b32 v[10:11], v12, off
	s_or_b32 vcc_lo, s0, vcc_lo
	v_cndmask_b32_e64 v16, v17, v16, s1
	s_wait_alu 0xfffe
	v_add_co_ci_u32_e32 v17, vcc_lo, 0, v19, vcc_lo
	v_cmp_ne_u32_e32 vcc_lo, 0, v18
	v_mul_f16_e32 v24, v79, v23
	v_and_b32_e32 v19, 7, v16
	v_cmp_eq_u32_e64 s1, 0x40f, v20
	v_lshrrev_b32_e32 v16, 2, v16
	s_wait_alu 0xfffd
	v_cndmask_b32_e64 v18, 0, 1, vcc_lo
	v_cmp_gt_i32_e32 vcc_lo, 31, v20
	v_cmp_eq_u32_e64 s0, 3, v19
	v_fmac_f16_e32 v24, v71, v13
	s_delay_alu instid0(VALU_DEP_4)
	v_lshl_or_b32 v18, v18, 9, 0x7c00
	s_wait_alu 0xfffd
	v_cndmask_b32_e32 v17, 0x7c00, v17, vcc_lo
	v_cmp_lt_i32_e32 vcc_lo, 5, v19
	v_mul_f64_e32 v[4:5], s[8:9], v[4:5]
	s_wait_alu 0xf1ff
	s_delay_alu instid0(VALU_DEP_3)
	v_cndmask_b32_e64 v20, v17, v18, s1
	s_or_b32 vcc_lo, s0, vcc_lo
	v_and_or_b32 v8, 0x1ff, v9, v8
	s_wait_alu 0xfffe
	v_add_co_ci_u32_e32 v18, vcc_lo, 0, v16, vcc_lo
	v_cvt_f32_f16_e32 v16, v24
	v_lshrrev_b32_e32 v19, 8, v9
	v_cmp_ne_u32_e32 vcc_lo, 0, v8
	v_bfe_u32 v24, v9, 20, 11
	s_delay_alu instid0(VALU_DEP_4) | instskip(SKIP_3) | instid1(VALU_DEP_2)
	v_cvt_f64_f32_e32 v[16:17], v16
	s_wait_alu 0xfffd
	v_cndmask_b32_e64 v8, 0, 1, vcc_lo
	v_cmp_ne_u32_e32 vcc_lo, 0, v14
	v_and_or_b32 v26, 0xffe, v19, v8
	v_sub_nc_u32_e32 v8, 0x3f1, v24
	s_wait_alu 0xfffd
	v_cndmask_b32_e64 v14, 0, 1, vcc_lo
	v_cmp_gt_i32_e32 vcc_lo, 31, v22
	v_add_nc_u32_e32 v24, 0xfffffc10, v24
	v_or_b32_e32 v27, 0x1000, v26
	v_med3_i32 v28, v8, 0, 13
	v_lshrrev_b32_e32 v8, 16, v21
	s_wait_alu 0xfffd
	v_cndmask_b32_e32 v25, 0x7c00, v18, vcc_lo
	v_lshl_or_b32 v14, v14, 9, 0x7c00
	v_cmp_eq_u32_e32 vcc_lo, 0x40f, v22
	v_lshrrev_b32_e32 v21, v28, v27
	v_and_or_b32 v20, 0x8000, v8, v20
	s_wait_alu 0xfffd
	v_cndmask_b32_e32 v14, v25, v14, vcc_lo
	s_delay_alu instid0(VALU_DEP_3) | instskip(SKIP_2) | instid1(VALU_DEP_4)
	v_lshlrev_b32_e32 v12, v28, v21
	v_and_or_b32 v4, 0x1ff, v5, v4
	v_lshl_or_b32 v25, v24, 12, v26
	v_and_or_b32 v22, 0x8000, v15, v14
	s_delay_alu instid0(VALU_DEP_4) | instskip(SKIP_3) | instid1(VALU_DEP_2)
	v_cmp_ne_u32_e32 vcc_lo, v12, v27
	s_wait_alu 0xfffd
	v_cndmask_b32_e64 v12, 0, 1, vcc_lo
	v_cmp_ne_u32_e32 vcc_lo, 0, v4
	v_or_b32_e32 v21, v21, v12
	s_wait_alu 0xfffd
	v_cndmask_b32_e64 v4, 0, 1, vcc_lo
	v_cmp_gt_i32_e32 vcc_lo, 1, v24
	s_wait_alu 0xfffd
	v_cndmask_b32_e32 v21, v25, v21, vcc_lo
	s_wait_loadcnt 0x0
	v_mad_co_u64_u32 v[18:19], null, s4, v29, 0
	s_delay_alu instid0(VALU_DEP_1) | instskip(NEXT) | instid1(VALU_DEP_1)
	v_mov_b32_e32 v8, v19
	v_mad_co_u64_u32 v[14:15], null, s5, v29, v[8:9]
	v_mul_f16_e32 v8, v79, v13
	v_lshrrev_b32_e32 v13, 8, v5
	v_lshrrev_b32_e32 v9, 16, v9
	s_delay_alu instid0(VALU_DEP_3) | instskip(SKIP_1) | instid1(VALU_DEP_4)
	v_fma_f16 v8, v71, v23, -v8
	v_bfe_u32 v23, v5, 20, 11
	v_and_or_b32 v4, 0xffe, v13, v4
	v_mul_f64_e32 v[12:13], s[8:9], v[16:17]
	s_delay_alu instid0(VALU_DEP_4) | instskip(NEXT) | instid1(VALU_DEP_4)
	v_cvt_f32_f16_e32 v8, v8
	v_sub_nc_u32_e32 v19, 0x3f1, v23
	s_delay_alu instid0(VALU_DEP_4) | instskip(NEXT) | instid1(VALU_DEP_3)
	v_or_b32_e32 v27, 0x1000, v4
	v_cvt_f64_f32_e32 v[15:16], v8
	s_delay_alu instid0(VALU_DEP_3) | instskip(SKIP_1) | instid1(VALU_DEP_2)
	v_med3_i32 v8, v19, 0, 13
	v_dual_mov_b32 v19, v14 :: v_dual_and_b32 v14, 0xffff, v20
	v_lshrrev_b32_e32 v25, v8, v27
	s_delay_alu instid0(VALU_DEP_2) | instskip(NEXT) | instid1(VALU_DEP_3)
	v_lshlrev_b64_e32 v[17:18], 2, v[18:19]
	v_lshl_or_b32 v14, v22, 16, v14
	v_and_b32_e32 v22, 7, v21
	ds_load_2addr_b32 v[19:20], v2 offset0:56 offset1:108
	v_lshlrev_b32_e32 v8, v8, v25
	v_add_co_u32 v6, vcc_lo, v6, v17
	s_wait_alu 0xfffd
	v_add_co_ci_u32_e32 v7, vcc_lo, v7, v18, vcc_lo
	v_cmp_lt_i32_e32 vcc_lo, 5, v22
	v_cmp_eq_u32_e64 s0, 3, v22
	v_lshrrev_b32_e32 v17, 2, v21
	v_cmp_ne_u32_e64 s1, v8, v27
	v_add_nc_u32_e32 v18, 0xfffffc10, v23
	global_store_b32 v[6:7], v14, off
	s_or_b32 vcc_lo, s0, vcc_lo
	v_lshrrev_b32_e32 v27, 16, v59
	s_wait_alu 0xfffe
	v_add_co_ci_u32_e32 v17, vcc_lo, 0, v17, vcc_lo
	v_cndmask_b32_e64 v8, 0, 1, s1
	v_cmp_gt_i32_e32 vcc_lo, 31, v24
	v_lshl_or_b32 v7, v18, 12, v4
	s_wait_dscnt 0x0
	v_lshrrev_b32_e32 v21, 16, v19
	v_and_or_b32 v12, 0x1ff, v13, v12
	v_or_b32_e32 v6, v25, v8
	s_wait_alu 0xfffd
	v_cndmask_b32_e32 v8, 0x7c00, v17, vcc_lo
	v_cmp_ne_u32_e32 vcc_lo, 0, v26
	v_bfe_u32 v23, v13, 20, 11
	v_lshrrev_b32_e32 v22, 8, v13
	s_wait_alu 0xfffd
	v_cndmask_b32_e64 v14, 0, 1, vcc_lo
	v_cmp_gt_i32_e32 vcc_lo, 1, v18
	s_delay_alu instid0(VALU_DEP_2)
	v_lshl_or_b32 v14, v14, 9, 0x7c00
	s_wait_alu 0xfffd
	v_cndmask_b32_e32 v17, v7, v6, vcc_lo
	v_cmp_ne_u32_e32 vcc_lo, 0, v12
	v_mul_f64_e32 v[6:7], s[8:9], v[15:16]
	v_mul_f16_e32 v16, v77, v21
	s_delay_alu instid0(VALU_DEP_4)
	v_and_b32_e32 v15, 7, v17
	s_wait_alu 0xfffd
	v_cndmask_b32_e64 v12, 0, 1, vcc_lo
	v_cmp_eq_u32_e32 vcc_lo, 0x40f, v24
	v_fmac_f16_e32 v16, v67, v19
	v_lshrrev_b32_e32 v17, 2, v17
	v_cmp_eq_u32_e64 s0, 3, v15
	v_and_or_b32 v12, 0xffe, v22, v12
	s_wait_alu 0xfffd
	v_cndmask_b32_e32 v8, v8, v14, vcc_lo
	v_cmp_lt_i32_e32 vcc_lo, 5, v15
	v_sub_nc_u32_e32 v14, 0x3f1, v23
	v_cvt_f32_f16_e32 v16, v16
	v_or_b32_e32 v22, 0x1000, v12
	v_mul_f16_e32 v19, v77, v19
	s_or_b32 vcc_lo, s0, vcc_lo
	v_med3_i32 v24, v14, 0, 13
	v_cvt_f64_f32_e32 v[14:15], v16
	s_wait_alu 0xfffe
	v_add_co_ci_u32_e32 v16, vcc_lo, 0, v17, vcc_lo
	v_cmp_ne_u32_e32 vcc_lo, 0, v4
	v_lshrrev_b32_e32 v17, v24, v22
	v_and_or_b32 v25, 0x8000, v9, v8
	s_wait_alu 0xfffd
	v_cndmask_b32_e64 v4, 0, 1, vcc_lo
	v_cmp_gt_i32_e32 vcc_lo, 31, v18
	v_lshlrev_b32_e32 v24, v24, v17
	s_delay_alu instid0(VALU_DEP_3)
	v_lshl_or_b32 v4, v4, 9, 0x7c00
	s_wait_alu 0xfffd
	v_cndmask_b32_e32 v16, 0x7c00, v16, vcc_lo
	v_cmp_eq_u32_e32 vcc_lo, 0x40f, v18
	v_add_nc_u32_e32 v18, 0xfffffc10, v23
	s_wait_alu 0xfffd
	s_delay_alu instid0(VALU_DEP_3)
	v_cndmask_b32_e32 v8, v16, v4, vcc_lo
	v_fma_f16 v4, v67, v21, -v19
	v_cmp_ne_u32_e32 vcc_lo, v24, v22
	v_and_or_b32 v6, 0x1ff, v7, v6
	v_lshrrev_b32_e32 v16, 16, v5
	v_lshrrev_b32_e32 v19, 8, v7
	v_cvt_f32_f16_e32 v4, v4
	s_wait_alu 0xfffd
	v_cndmask_b32_e64 v9, 0, 1, vcc_lo
	v_cmp_ne_u32_e32 vcc_lo, 0, v6
	v_bfe_u32 v22, v7, 20, 11
	v_and_or_b32 v21, 0x8000, v16, v8
	v_cvt_f64_f32_e32 v[4:5], v4
	v_or_b32_e32 v9, v17, v9
	v_lshl_or_b32 v17, v18, 12, v12
	s_wait_alu 0xfffd
	v_cndmask_b32_e64 v6, 0, 1, vcc_lo
	v_cmp_gt_i32_e32 vcc_lo, 1, v18
	v_and_b32_e32 v24, 0xffff, v25
	v_lshrrev_b32_e32 v7, 16, v7
	v_mul_f64_e32 v[14:15], s[8:9], v[14:15]
	v_and_or_b32 v19, 0xffe, v19, v6
	s_wait_alu 0xfffd
	v_cndmask_b32_e32 v16, v17, v9, vcc_lo
	v_sub_nc_u32_e32 v6, 0x3f1, v22
	v_mad_co_u64_u32 v[8:9], null, 0xd0, s4, v[10:11]
	v_or_b32_e32 v23, 0x1000, v19
	s_delay_alu instid0(VALU_DEP_4)
	v_and_b32_e32 v17, 7, v16
	ds_load_2addr_b32 v[10:11], v3 offset0:168 offset1:220
	v_med3_i32 v6, v6, 0, 13
	v_lshrrev_b32_e32 v16, 2, v16
	v_cmp_lt_i32_e32 vcc_lo, 5, v17
	v_cmp_eq_u32_e64 s0, 3, v17
	s_delay_alu instid0(VALU_DEP_4) | instskip(SKIP_1) | instid1(VALU_DEP_3)
	v_lshrrev_b32_e32 v25, v6, v23
	v_mov_b32_e32 v3, v9
	s_or_b32 vcc_lo, s0, vcc_lo
	s_delay_alu instid0(VALU_DEP_2) | instskip(SKIP_4) | instid1(VALU_DEP_2)
	v_lshlrev_b32_e32 v6, v6, v25
	s_wait_alu 0xfffe
	v_add_co_ci_u32_e32 v9, vcc_lo, 0, v16, vcc_lo
	v_cmp_gt_i32_e32 vcc_lo, 31, v18
	s_wait_alu 0xfffd
	v_cndmask_b32_e32 v9, 0x7c00, v9, vcc_lo
	v_cmp_ne_u32_e32 vcc_lo, v6, v23
	v_mad_co_u64_u32 v[16:17], null, 0xd0, s5, v[3:4]
	s_wait_alu 0xfffd
	v_cndmask_b32_e64 v3, 0, 1, vcc_lo
	v_add_nc_u32_e32 v17, 0xfffffc10, v22
	s_wait_dscnt 0x0
	v_lshrrev_b32_e32 v22, 16, v10
	v_cmp_ne_u32_e32 vcc_lo, 0, v12
	v_or_b32_e32 v12, v25, v3
	v_lshl_or_b32 v23, v17, 12, v19
	s_delay_alu instid0(VALU_DEP_4)
	v_mul_f16_e32 v25, v74, v22
	s_wait_alu 0xfffd
	v_cndmask_b32_e64 v6, 0, 1, vcc_lo
	v_mul_f64_e32 v[3:4], s[8:9], v[4:5]
	v_cmp_gt_i32_e32 vcc_lo, 1, v17
	v_and_or_b32 v14, 0x1ff, v15, v14
	v_fmac_f16_e32 v25, v66, v10
	v_lshl_or_b32 v5, v6, 9, 0x7c00
	v_lshrrev_b32_e32 v6, 16, v13
	s_wait_alu 0xfffd
	v_cndmask_b32_e32 v12, v23, v12, vcc_lo
	v_cmp_eq_u32_e32 vcc_lo, 0x40f, v18
	v_cvt_f32_f16_e32 v13, v25
	v_lshl_or_b32 v18, v21, 16, v24
	v_cmp_ne_u32_e64 s1, 0, v14
	v_and_b32_e32 v21, 7, v12
	s_wait_alu 0xfffd
	v_cndmask_b32_e32 v5, v9, v5, vcc_lo
	v_mov_b32_e32 v9, v16
	v_lshrrev_b32_e32 v14, 8, v15
	v_mul_f16_e32 v10, v74, v10
	v_cmp_lt_i32_e32 vcc_lo, 5, v21
	v_and_or_b32 v16, 0x8000, v6, v5
	v_cvt_f64_f32_e32 v[5:6], v13
	v_cmp_eq_u32_e64 s0, 3, v21
	s_wait_alu 0xf1ff
	v_cndmask_b32_e64 v13, 0, 1, s1
	v_bfe_u32 v21, v15, 20, 11
	v_fma_f16 v10, v66, v22, -v10
	global_store_b32 v[8:9], v18, off
	s_or_b32 vcc_lo, s0, vcc_lo
	v_and_or_b32 v14, 0xffe, v14, v13
	v_sub_nc_u32_e32 v13, 0x3f1, v21
	v_add_nc_u32_e32 v21, 0xfffffc10, v21
	v_lshrrev_b32_e32 v12, 2, v12
	v_cvt_f32_f16_e32 v10, v10
	v_or_b32_e32 v22, 0x1000, v14
	v_med3_i32 v23, v13, 0, 13
	s_wait_alu 0xfffe
	v_add_co_ci_u32_e32 v12, vcc_lo, 0, v12, vcc_lo
	v_cmp_ne_u32_e32 vcc_lo, 0, v19
	s_delay_alu instid0(VALU_DEP_3) | instskip(SKIP_4) | instid1(VALU_DEP_2)
	v_lshrrev_b32_e32 v25, v23, v22
	v_and_or_b32 v3, 0x1ff, v4, v3
	s_wait_alu 0xfffd
	v_cndmask_b32_e64 v19, 0, 1, vcc_lo
	v_cmp_gt_i32_e32 vcc_lo, 31, v17
	v_lshl_or_b32 v19, v19, 9, 0x7c00
	s_wait_alu 0xfffd
	v_cndmask_b32_e32 v24, 0x7c00, v12, vcc_lo
	v_cmp_eq_u32_e32 vcc_lo, 0x40f, v17
	v_cvt_f64_f32_e32 v[12:13], v10
	v_lshlrev_b32_e32 v17, v23, v25
	v_bfe_u32 v23, v4, 20, 11
	s_wait_alu 0xfffd
	v_cndmask_b32_e32 v10, v24, v19, vcc_lo
	v_cmp_ne_u32_e32 vcc_lo, 0, v3
	v_lshrrev_b32_e32 v19, 8, v4
	v_lshrrev_b32_e32 v4, 16, v4
	v_mul_f64_e32 v[5:6], s[8:9], v[5:6]
	v_and_or_b32 v7, 0x8000, v7, v10
	s_wait_alu 0xfffd
	v_cndmask_b32_e64 v3, 0, 1, vcc_lo
	v_cmp_ne_u32_e32 vcc_lo, v17, v22
	v_lshl_or_b32 v22, v21, 12, v14
	v_and_b32_e32 v10, 0xffff, v16
	s_delay_alu instid0(VALU_DEP_4)
	v_and_or_b32 v3, 0xffe, v19, v3
	s_wait_alu 0xfffd
	v_cndmask_b32_e64 v17, 0, 1, vcc_lo
	v_sub_nc_u32_e32 v19, 0x3f1, v23
	v_cmp_gt_i32_e32 vcc_lo, 1, v21
	v_lshl_or_b32 v18, v7, 16, v10
	v_or_b32_e32 v24, 0x1000, v3
	v_or_b32_e32 v17, v25, v17
	v_med3_i32 v19, v19, 0, 13
	s_wait_alu 0xfffd
	s_delay_alu instid0(VALU_DEP_2) | instskip(NEXT) | instid1(VALU_DEP_2)
	v_cndmask_b32_e32 v16, v22, v17, vcc_lo
	v_lshrrev_b32_e32 v17, v19, v24
	v_add_co_u32 v7, vcc_lo, v8, s2
	s_wait_alu 0xfffd
	v_add_co_ci_u32_e32 v8, vcc_lo, s3, v9, vcc_lo
	v_and_b32_e32 v10, 7, v16
	v_lshlrev_b32_e32 v19, v19, v17
	v_lshrrev_b32_e32 v16, 2, v16
	v_add_nc_u32_e32 v22, 0xfffffc10, v23
	global_store_b32 v[7:8], v18, off
	v_cmp_lt_i32_e32 vcc_lo, 5, v10
	v_cmp_eq_u32_e64 s0, 3, v10
	v_cmp_ne_u32_e64 s1, v19, v24
	v_mul_f64_e32 v[9:10], s[8:9], v[12:13]
	s_delay_alu instid0(VALU_DEP_3) | instskip(NEXT) | instid1(VALU_DEP_2)
	s_or_b32 vcc_lo, s0, vcc_lo
	v_cndmask_b32_e64 v19, 0, 1, s1
	s_wait_alu 0xfffe
	v_add_co_ci_u32_e32 v12, vcc_lo, 0, v16, vcc_lo
	v_cmp_ne_u32_e32 vcc_lo, 0, v14
	v_lshl_or_b32 v16, v22, 12, v3
	v_or_b32_e32 v13, v17, v19
	v_lshrrev_b32_e32 v17, 16, v20
	v_and_or_b32 v5, 0x1ff, v6, v5
	s_wait_alu 0xfffd
	v_cndmask_b32_e64 v14, 0, 1, vcc_lo
	v_cmp_gt_i32_e32 vcc_lo, 1, v22
	v_lshrrev_b32_e32 v23, 8, v6
	v_bfe_u32 v24, v6, 20, 11
	s_delay_alu instid0(VALU_DEP_4) | instskip(SKIP_4) | instid1(VALU_DEP_3)
	v_lshl_or_b32 v14, v14, 9, 0x7c00
	s_wait_alu 0xfffd
	v_cndmask_b32_e32 v16, v16, v13, vcc_lo
	v_cmp_gt_i32_e32 vcc_lo, 31, v21
	v_mul_f16_e32 v13, v73, v17
	v_and_b32_e32 v19, 7, v16
	s_wait_alu 0xfffd
	v_cndmask_b32_e32 v12, 0x7c00, v12, vcc_lo
	v_cmp_ne_u32_e32 vcc_lo, 0, v5
	v_fmac_f16_e32 v13, v63, v20
	v_mul_f16_e32 v20, v73, v20
	v_cmp_eq_u32_e64 s0, 3, v19
	s_wait_alu 0xfffd
	v_cndmask_b32_e64 v5, 0, 1, vcc_lo
	v_cmp_eq_u32_e32 vcc_lo, 0x40f, v21
	v_cvt_f32_f16_e32 v13, v13
	s_delay_alu instid0(VALU_DEP_3)
	v_and_or_b32 v5, 0xffe, v23, v5
	s_wait_alu 0xfffd
	v_cndmask_b32_e32 v21, v12, v14, vcc_lo
	v_sub_nc_u32_e32 v14, 0x3f1, v24
	v_cmp_lt_i32_e32 vcc_lo, 5, v19
	v_lshrrev_b32_e32 v19, 16, v15
	v_lshrrev_b32_e32 v15, 2, v16
	v_cvt_f64_f32_e32 v[12:13], v13
	v_or_b32_e32 v16, 0x1000, v5
	v_med3_i32 v14, v14, 0, 13
	s_or_b32 vcc_lo, s0, vcc_lo
	v_and_or_b32 v9, 0x1ff, v10, v9
	s_wait_alu 0xfffe
	v_add_co_ci_u32_e32 v15, vcc_lo, 0, v15, vcc_lo
	v_lshrrev_b32_e32 v23, v14, v16
	v_cmp_gt_i32_e32 vcc_lo, 31, v22
	v_add_nc_u32_e32 v24, 0xfffffc10, v24
	v_and_or_b32 v18, 0x8000, v19, v21
	v_lshrrev_b32_e32 v21, 16, v6
	v_lshlrev_b32_e32 v14, v14, v23
	s_wait_alu 0xfffd
	v_cndmask_b32_e32 v25, 0x7c00, v15, vcc_lo
	v_cmp_ne_u32_e32 vcc_lo, 0, v9
	v_fma_f16 v15, v63, v17, -v20
	v_lshrrev_b32_e32 v17, 8, v10
	v_bfe_u32 v20, v10, 20, 11
	v_and_b32_e32 v18, 0xffff, v18
	s_wait_alu 0xfffd
	v_cndmask_b32_e64 v9, 0, 1, vcc_lo
	v_cmp_ne_u32_e32 vcc_lo, v14, v16
	v_cvt_f32_f16_e32 v15, v15
	v_lshrrev_b32_e32 v10, 16, v10
	s_delay_alu instid0(VALU_DEP_4)
	v_and_or_b32 v9, 0xffe, v17, v9
	s_wait_alu 0xfffd
	v_cndmask_b32_e64 v16, 0, 1, vcc_lo
	v_sub_nc_u32_e32 v17, 0x3f1, v20
	v_cmp_ne_u32_e32 vcc_lo, 0, v3
	v_cvt_f64_f32_e32 v[14:15], v15
	v_or_b32_e32 v26, 0x1000, v9
	v_or_b32_e32 v16, v23, v16
	v_lshl_or_b32 v23, v24, 12, v5
	s_wait_alu 0xfffd
	v_cndmask_b32_e64 v3, 0, 1, vcc_lo
	v_med3_i32 v17, v17, 0, 13
	v_cmp_gt_i32_e32 vcc_lo, 1, v24
	s_delay_alu instid0(VALU_DEP_3)
	v_lshl_or_b32 v3, v3, 9, 0x7c00
	v_mul_f64_e32 v[12:13], s[8:9], v[12:13]
	s_wait_alu 0xfffd
	v_cndmask_b32_e32 v16, v23, v16, vcc_lo
	v_lshrrev_b32_e32 v23, v17, v26
	v_cmp_eq_u32_e32 vcc_lo, 0x40f, v22
	s_delay_alu instid0(VALU_DEP_3) | instskip(NEXT) | instid1(VALU_DEP_3)
	v_and_b32_e32 v22, 7, v16
	v_lshlrev_b32_e32 v17, v17, v23
	s_wait_alu 0xfffd
	v_cndmask_b32_e32 v3, v25, v3, vcc_lo
	s_delay_alu instid0(VALU_DEP_3) | instskip(NEXT) | instid1(VALU_DEP_3)
	v_cmp_lt_i32_e32 vcc_lo, 5, v22
	v_cmp_ne_u32_e64 s0, v17, v26
	s_delay_alu instid0(VALU_DEP_3)
	v_and_or_b32 v19, 0x8000, v4, v3
	v_lshrrev_b32_e32 v4, 2, v16
	v_add_nc_u32_e32 v17, 0xfffffc10, v20
	s_wait_alu 0xf1ff
	v_cndmask_b32_e64 v3, 0, 1, s0
	v_cmp_eq_u32_e64 s0, 3, v22
	v_lshl_or_b32 v18, v19, 16, v18
	v_lshl_or_b32 v16, v17, 12, v9
	s_delay_alu instid0(VALU_DEP_4) | instskip(NEXT) | instid1(VALU_DEP_4)
	v_or_b32_e32 v3, v23, v3
	s_or_b32 vcc_lo, s0, vcc_lo
	v_lshrrev_b32_e32 v23, 16, v62
	s_wait_alu 0xfffe
	v_add_co_ci_u32_e32 v20, vcc_lo, 0, v4, vcc_lo
	v_cmp_ne_u32_e32 vcc_lo, 0, v5
	s_wait_alu 0xfffd
	v_cndmask_b32_e64 v5, 0, 1, vcc_lo
	v_cmp_gt_i32_e32 vcc_lo, 1, v17
	s_delay_alu instid0(VALU_DEP_2)
	v_lshl_or_b32 v5, v5, 9, 0x7c00
	s_wait_alu 0xfffd
	v_cndmask_b32_e32 v16, v16, v3, vcc_lo
	v_mul_f64_e32 v[3:4], s[8:9], v[14:15]
	v_lshrrev_b32_e32 v14, 16, v11
	v_cmp_gt_i32_e32 vcc_lo, 31, v24
	s_delay_alu instid0(VALU_DEP_2)
	v_mul_f16_e32 v19, v23, v14
	s_wait_alu 0xfffd
	v_cndmask_b32_e32 v15, 0x7c00, v20, vcc_lo
	v_cmp_eq_u32_e32 vcc_lo, 0x40f, v24
	v_and_b32_e32 v20, 7, v16
	v_fmac_f16_e32 v19, v62, v11
	v_mul_f16_e32 v11, v23, v11
	s_wait_alu 0xfffd
	v_cndmask_b32_e32 v15, v15, v5, vcc_lo
	v_and_or_b32 v5, 0x1ff, v13, v12
	v_cmp_lt_i32_e32 vcc_lo, 5, v20
	v_cmp_eq_u32_e64 s0, 3, v20
	v_cvt_f32_f16_e32 v6, v19
	v_lshrrev_b32_e32 v12, 2, v16
	v_cmp_ne_u32_e64 s1, 0, v5
	v_lshrrev_b32_e32 v19, 8, v13
	s_or_b32 vcc_lo, s0, vcc_lo
	v_cvt_f64_f32_e32 v[5:6], v6
	s_wait_alu 0xfffe
	v_add_co_ci_u32_e32 v12, vcc_lo, 0, v12, vcc_lo
	v_cndmask_b32_e64 v16, 0, 1, s1
	v_bfe_u32 v20, v13, 20, 11
	v_cmp_ne_u32_e32 vcc_lo, 0, v9
	v_fma_f16 v11, v62, v14, -v11
	v_and_or_b32 v14, 0x8000, v21, v15
	v_and_or_b32 v16, 0xffe, v19, v16
	v_sub_nc_u32_e32 v19, 0x3f1, v20
	s_wait_alu 0xfffd
	v_cndmask_b32_e64 v9, 0, 1, vcc_lo
	v_cmp_gt_i32_e32 vcc_lo, 31, v17
	v_add_nc_u32_e32 v20, 0xfffffc10, v20
	v_or_b32_e32 v22, 0x1000, v16
	v_med3_i32 v19, v19, 0, 13
	v_lshl_or_b32 v9, v9, 9, 0x7c00
	s_wait_alu 0xfffd
	v_cndmask_b32_e32 v12, 0x7c00, v12, vcc_lo
	v_cmp_eq_u32_e32 vcc_lo, 0x40f, v17
	v_and_or_b32 v3, 0x1ff, v4, v3
	v_lshrrev_b32_e32 v13, 16, v13
	s_wait_alu 0xfffd
	v_cndmask_b32_e32 v9, v12, v9, vcc_lo
	v_lshrrev_b32_e32 v12, v19, v22
	v_cmp_ne_u32_e32 vcc_lo, 0, v3
	s_delay_alu instid0(VALU_DEP_3) | instskip(NEXT) | instid1(VALU_DEP_3)
	v_and_or_b32 v15, 0x8000, v10, v9
	v_lshlrev_b32_e32 v17, v19, v12
	v_cvt_f32_f16_e32 v9, v11
	s_wait_alu 0xfffd
	v_cndmask_b32_e64 v3, 0, 1, vcc_lo
	v_lshrrev_b32_e32 v11, 8, v4
	v_bfe_u32 v19, v4, 20, 11
	v_cmp_ne_u32_e32 vcc_lo, v17, v22
	v_cvt_f64_f32_e32 v[9:10], v9
	s_delay_alu instid0(VALU_DEP_4) | instskip(NEXT) | instid1(VALU_DEP_4)
	v_and_or_b32 v21, 0xffe, v11, v3
	v_sub_nc_u32_e32 v3, 0x3f1, v19
	s_wait_alu 0xfffd
	v_cndmask_b32_e64 v17, 0, 1, vcc_lo
	v_mul_f64_e32 v[5:6], s[8:9], v[5:6]
	v_and_b32_e32 v11, 0xffff, v14
	v_lshl_or_b32 v14, v20, 12, v16
	v_med3_i32 v22, v3, 0, 13
	v_or_b32_e32 v12, v12, v17
	v_or_b32_e32 v17, 0x1000, v21
	v_cmp_gt_i32_e32 vcc_lo, 1, v20
	ds_load_2addr_b32 v[2:3], v2 offset0:160 offset1:212
	v_lshl_or_b32 v24, v15, 16, v11
	v_lshrrev_b32_e32 v23, v22, v17
	s_wait_alu 0xfffd
	v_cndmask_b32_e32 v14, v14, v12, vcc_lo
	v_add_co_u32 v7, vcc_lo, v7, s6
	s_wait_alu 0xfffd
	v_add_co_ci_u32_e32 v8, vcc_lo, s7, v8, vcc_lo
	v_lshlrev_b32_e32 v22, v22, v23
	s_delay_alu instid0(VALU_DEP_3) | instskip(SKIP_1) | instid1(VALU_DEP_3)
	v_add_co_u32 v11, vcc_lo, v7, s2
	s_wait_alu 0xfffd
	v_add_co_ci_u32_e32 v12, vcc_lo, s3, v8, vcc_lo
	s_delay_alu instid0(VALU_DEP_3)
	v_cmp_ne_u32_e64 s1, v22, v17
	v_add_nc_u32_e32 v17, 0xfffffc10, v19
	v_and_b32_e32 v15, 7, v14
	v_lshrrev_b32_e32 v14, 2, v14
	s_wait_dscnt 0x0
	v_lshrrev_b32_e32 v19, 16, v2
	s_delay_alu instid0(VALU_DEP_3)
	v_cmp_lt_i32_e32 vcc_lo, 5, v15
	v_cmp_eq_u32_e64 s0, 3, v15
	s_wait_alu 0xf1ff
	v_cndmask_b32_e64 v15, 0, 1, s1
	v_lshl_or_b32 v22, v17, 12, v21
	v_mul_f64_e32 v[9:10], s[8:9], v[9:10]
	s_or_b32 vcc_lo, s0, vcc_lo
	s_delay_alu instid0(VALU_DEP_3)
	v_or_b32_e32 v15, v23, v15
	s_wait_alu 0xfffe
	v_add_co_ci_u32_e32 v14, vcc_lo, 0, v14, vcc_lo
	v_cmp_ne_u32_e32 vcc_lo, 0, v16
	v_mul_f16_e32 v23, v27, v19
	v_bfe_u32 v25, v6, 20, 11
	v_and_or_b32 v5, 0x1ff, v6, v5
	s_wait_alu 0xfffd
	v_cndmask_b32_e64 v16, 0, 1, vcc_lo
	v_cmp_gt_i32_e32 vcc_lo, 1, v17
	v_fmac_f16_e32 v23, v59, v2
	v_cmp_ne_u32_e64 s0, 0, v5
	v_mul_f16_e32 v2, v27, v2
	s_wait_alu 0xfffd
	v_cndmask_b32_e32 v22, v22, v15, vcc_lo
	v_cmp_gt_i32_e32 vcc_lo, 31, v20
	v_lshl_or_b32 v15, v16, 9, 0x7c00
	v_cvt_f32_f16_e32 v23, v23
	s_wait_alu 0xf1ff
	v_cndmask_b32_e64 v5, 0, 1, s0
	v_and_b32_e32 v16, 7, v22
	s_wait_alu 0xfffd
	v_cndmask_b32_e32 v14, 0x7c00, v14, vcc_lo
	v_cmp_eq_u32_e32 vcc_lo, 0x40f, v20
	v_fma_f16 v2, v59, v19, -v2
	v_cmp_eq_u32_e64 s0, 3, v16
	s_wait_alu 0xfffd
	v_cndmask_b32_e32 v20, v14, v15, vcc_lo
	v_cvt_f64_f32_e32 v[14:15], v23
	v_cmp_lt_i32_e32 vcc_lo, 5, v16
	v_lshrrev_b32_e32 v16, 2, v22
	v_lshrrev_b32_e32 v23, 8, v6
	v_cvt_f32_f16_e32 v2, v2
	v_and_or_b32 v20, 0x8000, v13, v20
	s_or_b32 vcc_lo, s0, vcc_lo
	v_lshrrev_b32_e32 v6, 16, v6
	s_wait_alu 0xfffe
	v_add_co_ci_u32_e32 v16, vcc_lo, 0, v16, vcc_lo
	v_and_or_b32 v22, 0xffe, v23, v5
	v_sub_nc_u32_e32 v5, 0x3f1, v25
	v_cmp_ne_u32_e32 vcc_lo, 0, v21
	v_and_or_b32 v9, 0x1ff, v10, v9
	v_bfe_u32 v19, v10, 20, 11
	v_or_b32_e32 v23, 0x1000, v22
	v_med3_i32 v5, v5, 0, 13
	s_wait_alu 0xfffd
	v_cndmask_b32_e64 v21, 0, 1, vcc_lo
	v_cmp_gt_i32_e32 vcc_lo, 31, v17
	v_and_b32_e32 v20, 0xffff, v20
	v_lshrrev_b32_e32 v26, v5, v23
	s_delay_alu instid0(VALU_DEP_4)
	v_lshl_or_b32 v21, v21, 9, 0x7c00
	s_wait_alu 0xfffd
	v_cndmask_b32_e32 v16, 0x7c00, v16, vcc_lo
	v_cmp_eq_u32_e32 vcc_lo, 0x40f, v17
	v_lshrrev_b32_e32 v17, 16, v4
	v_lshlrev_b32_e32 v4, v5, v26
	s_wait_alu 0xfffd
	v_cndmask_b32_e32 v16, v16, v21, vcc_lo
	v_cmp_ne_u32_e32 vcc_lo, 0, v9
	v_lshrrev_b32_e32 v9, 8, v10
	s_wait_alu 0xfffd
	v_cndmask_b32_e64 v5, 0, 1, vcc_lo
	v_cmp_ne_u32_e32 vcc_lo, v4, v23
	v_add_nc_u32_e32 v23, 0xfffffc10, v25
	v_sub_nc_u32_e32 v25, 0x3f1, v19
	s_delay_alu instid0(VALU_DEP_4)
	v_and_or_b32 v9, 0xffe, v9, v5
	s_wait_alu 0xfffd
	v_cndmask_b32_e64 v21, 0, 1, vcc_lo
	v_mul_f64_e32 v[4:5], s[8:9], v[14:15]
	v_cvt_f64_f32_e32 v[13:14], v2
	v_and_or_b32 v2, 0x8000, v17, v16
	v_lshl_or_b32 v16, v23, 12, v22
	v_or_b32_e32 v15, v26, v21
	v_cmp_gt_i32_e32 vcc_lo, 1, v23
	v_or_b32_e32 v17, 0x1000, v9
	v_med3_i32 v21, v25, 0, 13
	v_lshl_or_b32 v2, v2, 16, v20
	s_wait_alu 0xfffd
	v_cndmask_b32_e32 v25, v16, v15, vcc_lo
	ds_load_2addr_b32 v[15:16], v0 offset0:16 offset1:68
	v_lshrrev_b32_e32 v26, v21, v17
	global_store_b32 v[7:8], v18, off
	global_store_b32 v[11:12], v24, off
	v_add_co_u32 v7, vcc_lo, v11, s6
	v_and_b32_e32 v18, 7, v25
	v_lshlrev_b32_e32 v20, v21, v26
	s_wait_alu 0xfffd
	v_add_co_ci_u32_e32 v8, vcc_lo, s7, v12, vcc_lo
	v_lshrrev_b32_e32 v11, 2, v25
	v_cmp_lt_i32_e32 vcc_lo, 5, v18
	v_cmp_eq_u32_e64 s0, 3, v18
	v_cmp_ne_u32_e64 s1, v20, v17
	v_add_nc_u32_e32 v17, 0xfffffc10, v19
	global_store_b32 v[7:8], v2, off
	s_or_b32 vcc_lo, s0, vcc_lo
	v_cndmask_b32_e64 v12, 0, 1, s1
	s_wait_alu 0xfffe
	v_add_co_ci_u32_e32 v18, vcc_lo, 0, v11, vcc_lo
	v_cmp_ne_u32_e32 vcc_lo, 0, v22
	s_wait_dscnt 0x0
	v_lshrrev_b32_e32 v19, 16, v15
	v_or_b32_e32 v11, v26, v12
	v_lshl_or_b32 v12, v17, 12, v9
	v_lshrrev_b32_e32 v26, 16, v58
	s_wait_alu 0xfffd
	v_cndmask_b32_e64 v20, 0, 1, vcc_lo
	v_cmp_gt_i32_e32 vcc_lo, 1, v17
	v_and_or_b32 v4, 0x1ff, v5, v4
	v_cmp_eq_u32_e64 s1, 0x40f, v23
	v_mul_f16_e32 v21, v26, v19
	v_lshl_or_b32 v20, v20, 9, 0x7c00
	s_wait_alu 0xfffd
	v_cndmask_b32_e32 v22, v12, v11, vcc_lo
	v_mul_f64_e32 v[11:12], s[8:9], v[13:14]
	v_cmp_gt_i32_e32 vcc_lo, 31, v23
	v_fmac_f16_e32 v21, v58, v15
	v_bfe_u32 v25, v5, 20, 11
	v_and_b32_e32 v24, 7, v22
	v_mul_f16_e32 v15, v26, v15
	s_wait_alu 0xfffd
	v_cndmask_b32_e32 v18, 0x7c00, v18, vcc_lo
	v_cmp_ne_u32_e32 vcc_lo, 0, v4
	v_cvt_f32_f16_e32 v13, v21
	v_lshrrev_b32_e32 v21, 8, v5
	v_cmp_eq_u32_e64 s0, 3, v24
	s_wait_alu 0xf1ff
	v_cndmask_b32_e64 v18, v18, v20, s1
	s_wait_alu 0xfffd
	v_cndmask_b32_e64 v4, 0, 1, vcc_lo
	v_cvt_f64_f32_e32 v[13:14], v13
	v_cmp_lt_i32_e32 vcc_lo, 5, v24
	v_lshrrev_b32_e32 v20, 2, v22
	v_and_or_b32 v6, 0x8000, v6, v18
	v_and_or_b32 v4, 0xffe, v21, v4
	v_sub_nc_u32_e32 v21, 0x3f1, v25
	s_or_b32 vcc_lo, s0, vcc_lo
	v_add_nc_u32_e32 v18, 0xfffffc10, v25
	s_wait_alu 0xfffe
	v_add_co_ci_u32_e32 v20, vcc_lo, 0, v20, vcc_lo
	v_or_b32_e32 v22, 0x1000, v4
	v_med3_i32 v21, v21, 0, 13
	v_cmp_ne_u32_e32 vcc_lo, 0, v9
	v_fma_f16 v15, v58, v19, -v15
	v_lshrrev_b32_e32 v19, 16, v10
	v_and_b32_e32 v6, 0xffff, v6
	v_lshrrev_b32_e32 v23, v21, v22
	s_wait_alu 0xfffd
	v_cndmask_b32_e64 v9, 0, 1, vcc_lo
	v_cmp_gt_i32_e32 vcc_lo, 31, v17
	v_cvt_f32_f16_e32 v15, v15
	v_lshrrev_b32_e32 v24, 16, v56
	v_lshlrev_b32_e32 v21, v21, v23
	v_lshl_or_b32 v9, v9, 9, 0x7c00
	s_wait_alu 0xfffd
	v_cndmask_b32_e32 v20, 0x7c00, v20, vcc_lo
	v_cmp_eq_u32_e32 vcc_lo, 0x40f, v17
	v_and_or_b32 v11, 0x1ff, v12, v11
	v_lshrrev_b32_e32 v25, 16, v52
	s_wait_alu 0xfffd
	v_cndmask_b32_e32 v17, v20, v9, vcc_lo
	v_cmp_ne_u32_e32 vcc_lo, v21, v22
	v_lshl_or_b32 v21, v18, 12, v4
	v_lshrrev_b32_e32 v22, 8, v12
	s_delay_alu instid0(VALU_DEP_4) | instskip(SKIP_3) | instid1(VALU_DEP_3)
	v_and_or_b32 v17, 0x8000, v19, v17
	s_wait_alu 0xfffd
	v_cndmask_b32_e64 v9, 0, 1, vcc_lo
	v_cmp_ne_u32_e32 vcc_lo, 0, v11
	v_lshl_or_b32 v17, v17, 16, v6
	s_delay_alu instid0(VALU_DEP_3)
	v_or_b32_e32 v20, v23, v9
	s_wait_alu 0xfffd
	v_cndmask_b32_e64 v11, 0, 1, vcc_lo
	v_cmp_gt_i32_e32 vcc_lo, 1, v18
	v_bfe_u32 v23, v12, 20, 11
	v_mul_f64_e32 v[9:10], s[8:9], v[13:14]
	v_cvt_f64_f32_e32 v[13:14], v15
	v_and_or_b32 v11, 0xffe, v22, v11
	s_wait_alu 0xfffd
	v_cndmask_b32_e32 v15, v21, v20, vcc_lo
	v_sub_nc_u32_e32 v19, 0x3f1, v23
	v_add_co_u32 v6, s1, v7, s2
	v_or_b32_e32 v2, 0x1000, v11
	s_delay_alu instid0(VALU_DEP_4) | instskip(NEXT) | instid1(VALU_DEP_4)
	v_and_b32_e32 v20, 7, v15
	v_med3_i32 v19, v19, 0, 13
	v_lshrrev_b32_e32 v15, 2, v15
	s_wait_alu 0xf1ff
	v_add_co_ci_u32_e64 v7, s1, s3, v8, s1
	v_cmp_lt_i32_e32 vcc_lo, 5, v20
	v_cmp_eq_u32_e64 s0, 3, v20
	v_lshrrev_b32_e32 v20, v19, v2
	global_store_b32 v[6:7], v17, off
	v_lshrrev_b32_e32 v17, 16, v3
	v_lshrrev_b32_e32 v12, 16, v12
	s_or_b32 vcc_lo, s0, vcc_lo
	s_wait_alu 0xfffe
	v_add_co_ci_u32_e32 v8, vcc_lo, 0, v15, vcc_lo
	v_lshlrev_b32_e32 v15, v19, v20
	v_cmp_gt_i32_e32 vcc_lo, 31, v18
	v_mul_f16_e32 v21, v24, v17
	s_wait_alu 0xfffd
	v_cndmask_b32_e32 v19, 0x7c00, v8, vcc_lo
	v_cmp_ne_u32_e32 vcc_lo, v15, v2
	s_delay_alu instid0(VALU_DEP_3)
	v_fmac_f16_e32 v21, v56, v3
	v_mul_f16_e32 v3, v24, v3
	v_lshrrev_b32_e32 v24, 16, v54
	s_wait_alu 0xfffd
	v_cndmask_b32_e64 v2, 0, 1, vcc_lo
	v_cmp_ne_u32_e32 vcc_lo, 0, v4
	v_fma_f16 v3, v56, v17, -v3
	v_and_or_b32 v22, 0x1ff, v10, v9
	v_mul_f64_e32 v[8:9], s[8:9], v[13:14]
	v_or_b32_e32 v2, v20, v2
	v_add_nc_u32_e32 v15, 0xfffffc10, v23
	s_wait_alu 0xfffd
	v_cndmask_b32_e64 v4, 0, 1, vcc_lo
	v_cvt_f32_f16_e32 v13, v21
	v_lshrrev_b32_e32 v21, 8, v10
	v_lshrrev_b32_e32 v17, 16, v5
	v_lshl_or_b32 v20, v15, 12, v11
	v_cmp_gt_i32_e32 vcc_lo, 1, v15
	v_lshl_or_b32 v4, v4, 9, 0x7c00
	v_cvt_f64_f32_e32 v[13:14], v13
	v_cvt_f32_f16_e32 v3, v3
	s_wait_alu 0xfffd
	v_cndmask_b32_e32 v2, v20, v2, vcc_lo
	v_cmp_ne_u32_e32 vcc_lo, 0, v22
	v_bfe_u32 v22, v10, 20, 11
	s_delay_alu instid0(VALU_DEP_3)
	v_and_b32_e32 v23, 7, v2
	s_wait_alu 0xfffd
	v_cndmask_b32_e64 v20, 0, 1, vcc_lo
	v_cmp_eq_u32_e32 vcc_lo, 0x40f, v18
	v_lshrrev_b32_e32 v2, 2, v2
	v_cmp_eq_u32_e64 s0, 3, v23
	s_delay_alu instid0(VALU_DEP_4)
	v_and_or_b32 v20, 0xffe, v21, v20
	v_sub_nc_u32_e32 v21, 0x3f1, v22
	s_wait_alu 0xfffd
	v_cndmask_b32_e32 v18, v19, v4, vcc_lo
	v_cmp_lt_i32_e32 vcc_lo, 5, v23
	v_or_b32_e32 v4, 0x1000, v20
	v_med3_i32 v19, v21, 0, 13
	s_or_b32 vcc_lo, s0, vcc_lo
	s_wait_alu 0xfffe
	v_add_co_ci_u32_e32 v21, vcc_lo, 0, v2, vcc_lo
	s_delay_alu instid0(VALU_DEP_2)
	v_lshrrev_b32_e32 v5, v19, v4
	v_cmp_ne_u32_e32 vcc_lo, 0, v11
	v_cvt_f64_f32_e32 v[2:3], v3
	v_and_or_b32 v8, 0x1ff, v9, v8
	v_bfe_u32 v23, v9, 20, 11
	v_lshlrev_b32_e32 v19, v19, v5
	s_wait_alu 0xfffd
	v_cndmask_b32_e64 v11, 0, 1, vcc_lo
	v_cmp_gt_i32_e32 vcc_lo, 31, v15
	s_delay_alu instid0(VALU_DEP_2)
	v_lshl_or_b32 v11, v11, 9, 0x7c00
	s_wait_alu 0xfffd
	v_cndmask_b32_e32 v21, 0x7c00, v21, vcc_lo
	v_cmp_ne_u32_e32 vcc_lo, v19, v4
	v_add_nc_u32_e32 v19, 0xfffffc10, v22
	v_lshrrev_b32_e32 v22, 8, v9
	v_lshrrev_b32_e32 v9, 16, v9
	s_wait_alu 0xfffd
	v_cndmask_b32_e64 v4, 0, 1, vcc_lo
	v_cmp_eq_u32_e32 vcc_lo, 0x40f, v15
	s_delay_alu instid0(VALU_DEP_2)
	v_or_b32_e32 v15, v5, v4
	s_wait_alu 0xfffd
	v_cndmask_b32_e32 v11, v21, v11, vcc_lo
	v_cmp_ne_u32_e32 vcc_lo, 0, v8
	v_lshl_or_b32 v21, v19, 12, v20
	v_mul_f64_e32 v[4:5], s[8:9], v[13:14]
	v_and_or_b32 v14, 0x8000, v17, v18
	v_and_or_b32 v11, 0x8000, v12, v11
	s_wait_alu 0xfffd
	v_cndmask_b32_e64 v8, 0, 1, vcc_lo
	v_cmp_gt_i32_e32 vcc_lo, 1, v19
	v_and_b32_e32 v12, 0xffff, v14
	s_delay_alu instid0(VALU_DEP_3) | instskip(SKIP_3) | instid1(VALU_DEP_3)
	v_and_or_b32 v8, 0xffe, v22, v8
	s_wait_alu 0xfffd
	v_cndmask_b32_e32 v13, v21, v15, vcc_lo
	v_sub_nc_u32_e32 v15, 0x3f1, v23
	v_or_b32_e32 v14, 0x1000, v8
	s_delay_alu instid0(VALU_DEP_3) | instskip(NEXT) | instid1(VALU_DEP_3)
	v_and_b32_e32 v17, 7, v13
	v_med3_i32 v15, v15, 0, 13
	v_mul_f64_e32 v[2:3], s[8:9], v[2:3]
	s_delay_alu instid0(VALU_DEP_3)
	v_cmp_lt_i32_e32 vcc_lo, 5, v17
	v_cmp_eq_u32_e64 s0, 3, v17
	v_lshl_or_b32 v17, v11, 16, v12
	v_lshrrev_b32_e32 v11, 2, v13
	v_lshrrev_b32_e32 v12, v15, v14
	;; [unrolled: 1-line block ×3, first 2 shown]
	s_or_b32 vcc_lo, s0, vcc_lo
	s_wait_alu 0xfffe
	v_add_co_ci_u32_e32 v11, vcc_lo, 0, v11, vcc_lo
	v_add_co_u32 v6, vcc_lo, v6, s6
	s_wait_alu 0xfffd
	v_add_co_ci_u32_e32 v7, vcc_lo, s7, v7, vcc_lo
	v_lshlrev_b32_e32 v15, v15, v12
	v_cmp_gt_i32_e32 vcc_lo, 31, v19
	v_mul_f16_e32 v18, v24, v13
	global_store_b32 v[6:7], v17, off
	v_and_or_b32 v4, 0x1ff, v5, v4
	s_wait_alu 0xfffd
	v_cndmask_b32_e32 v21, 0x7c00, v11, vcc_lo
	v_cmp_ne_u32_e32 vcc_lo, v15, v14
	v_fmac_f16_e32 v18, v54, v16
	v_add_nc_u32_e32 v14, 0xfffffc10, v23
	s_wait_alu 0xfffd
	v_cndmask_b32_e64 v11, 0, 1, vcc_lo
	v_cmp_ne_u32_e32 vcc_lo, 0, v20
	v_cvt_f32_f16_e32 v18, v18
	v_lshl_or_b32 v22, v14, 12, v8
	s_delay_alu instid0(VALU_DEP_4)
	v_or_b32_e32 v20, v12, v11
	s_wait_alu 0xfffd
	v_cndmask_b32_e64 v15, 0, 1, vcc_lo
	v_cmp_gt_i32_e32 vcc_lo, 1, v14
	v_cvt_f64_f32_e32 v[11:12], v18
	v_and_or_b32 v2, 0x1ff, v3, v2
	s_delay_alu instid0(VALU_DEP_4)
	v_lshl_or_b32 v15, v15, 9, 0x7c00
	s_wait_alu 0xfffd
	v_cndmask_b32_e32 v18, v22, v20, vcc_lo
	v_cmp_ne_u32_e32 vcc_lo, 0, v4
	v_lshrrev_b32_e32 v20, 8, v5
	v_bfe_u32 v22, v5, 20, 11
	v_lshrrev_b32_e32 v5, 16, v5
	v_and_b32_e32 v23, 7, v18
	s_wait_alu 0xfffd
	v_cndmask_b32_e64 v4, 0, 1, vcc_lo
	v_cmp_eq_u32_e32 vcc_lo, 0x40f, v19
	v_sub_nc_u32_e32 v19, 0x3f1, v22
	v_lshrrev_b32_e32 v18, 2, v18
	v_cmp_eq_u32_e64 s0, 3, v23
	v_and_or_b32 v4, 0xffe, v20, v4
	s_wait_alu 0xfffd
	v_cndmask_b32_e32 v15, v21, v15, vcc_lo
	v_cmp_lt_i32_e32 vcc_lo, 5, v23
	v_med3_i32 v19, v19, 0, 13
	v_lshrrev_b32_e32 v21, 16, v10
	v_or_b32_e32 v20, 0x1000, v4
	v_mul_f16_e32 v10, v24, v16
	s_or_b32 vcc_lo, s0, vcc_lo
	v_add_nc_u32_e32 v22, 0xfffffc10, v22
	s_wait_alu 0xfffe
	v_add_co_ci_u32_e32 v18, vcc_lo, 0, v18, vcc_lo
	v_lshrrev_b32_e32 v23, v19, v20
	v_cmp_ne_u32_e32 vcc_lo, 0, v8
	v_fma_f16 v10, v54, v13, -v10
	v_lshrrev_b32_e32 v13, 8, v3
	v_and_or_b32 v15, 0x8000, v21, v15
	v_lshlrev_b32_e32 v16, v19, v23
	s_wait_alu 0xfffd
	v_cndmask_b32_e64 v8, 0, 1, vcc_lo
	v_cmp_ne_u32_e32 vcc_lo, 0, v2
	v_bfe_u32 v19, v3, 20, 11
	s_delay_alu instid0(VALU_DEP_3)
	v_lshl_or_b32 v8, v8, 9, 0x7c00
	s_wait_alu 0xfffd
	v_cndmask_b32_e64 v2, 0, 1, vcc_lo
	v_cmp_ne_u32_e32 vcc_lo, v16, v20
	v_cvt_f32_f16_e32 v20, v10
	v_mul_f64_e32 v[10:11], s[8:9], v[11:12]
	s_delay_alu instid0(VALU_DEP_4)
	v_and_or_b32 v24, 0xffe, v13, v2
	s_wait_alu 0xfffd
	v_cndmask_b32_e64 v16, 0, 1, vcc_lo
	v_sub_nc_u32_e32 v2, 0x3f1, v19
	v_cmp_gt_i32_e32 vcc_lo, 31, v14
	v_cvt_f64_f32_e32 v[12:13], v20
	v_lshl_or_b32 v20, v22, 12, v4
	v_or_b32_e32 v16, v23, v16
	v_or_b32_e32 v23, 0x1000, v24
	v_med3_i32 v2, v2, 0, 13
	s_wait_alu 0xfffd
	v_cndmask_b32_e32 v18, 0x7c00, v18, vcc_lo
	v_cmp_gt_i32_e32 vcc_lo, 1, v22
	s_wait_alu 0xfffd
	v_cndmask_b32_e32 v16, v20, v16, vcc_lo
	v_lshrrev_b32_e32 v20, v2, v23
	v_cmp_eq_u32_e32 vcc_lo, 0x40f, v14
	s_delay_alu instid0(VALU_DEP_3)
	v_and_b32_e32 v14, 7, v16
	s_wait_alu 0xfffd
	v_cndmask_b32_e32 v8, v18, v8, vcc_lo
	v_lshlrev_b32_e32 v18, v2, v20
	ds_load_2addr_b32 v[1:2], v1 offset0:8 offset1:60
	v_cmp_lt_i32_e32 vcc_lo, 5, v14
	v_and_or_b32 v17, 0x8000, v9, v8
	v_cmp_ne_u32_e64 s0, v18, v23
	v_lshrrev_b32_e32 v9, 2, v16
	v_add_nc_u32_e32 v18, 0xfffffc10, v19
	s_wait_alu 0xf1ff
	s_delay_alu instid0(VALU_DEP_3)
	v_cndmask_b32_e64 v8, 0, 1, s0
	v_cmp_eq_u32_e64 s0, 3, v14
	v_and_b32_e32 v14, 0xffff, v15
	v_lshl_or_b32 v15, v18, 12, v24
	v_and_or_b32 v10, 0x1ff, v11, v10
	v_or_b32_e32 v8, v20, v8
	s_or_b32 vcc_lo, s0, vcc_lo
	v_lshrrev_b32_e32 v20, 8, v11
	s_wait_alu 0xfffe
	v_add_co_ci_u32_e32 v16, vcc_lo, 0, v9, vcc_lo
	v_cmp_ne_u32_e32 vcc_lo, 0, v4
	s_wait_dscnt 0x0
	v_lshrrev_b32_e32 v19, 16, v1
	v_bfe_u32 v21, v11, 20, 11
	v_lshl_or_b32 v17, v17, 16, v14
	v_lshrrev_b32_e32 v11, 16, v11
	s_wait_alu 0xfffd
	v_cndmask_b32_e64 v4, 0, 1, vcc_lo
	v_cmp_gt_i32_e32 vcc_lo, 1, v18
	s_delay_alu instid0(VALU_DEP_2)
	v_lshl_or_b32 v4, v4, 9, 0x7c00
	s_wait_alu 0xfffd
	v_cndmask_b32_e32 v15, v15, v8, vcc_lo
	v_cmp_gt_i32_e32 vcc_lo, 31, v22
	v_mul_f64_e32 v[8:9], s[8:9], v[12:13]
	v_mul_f16_e32 v13, v25, v19
	s_wait_alu 0xfffd
	v_cndmask_b32_e32 v12, 0x7c00, v16, vcc_lo
	v_cmp_ne_u32_e32 vcc_lo, 0, v10
	s_delay_alu instid0(VALU_DEP_3)
	v_fmac_f16_e32 v13, v52, v1
	v_and_b32_e32 v16, 7, v15
	v_lshrrev_b32_e32 v15, 2, v15
	v_mul_f16_e32 v1, v25, v1
	s_wait_alu 0xfffd
	v_cndmask_b32_e64 v10, 0, 1, vcc_lo
	v_cmp_eq_u32_e32 vcc_lo, 0x40f, v22
	v_cmp_eq_u32_e64 s0, 3, v16
	v_lshrrev_b32_e32 v25, 16, v51
	v_fma_f16 v1, v52, v19, -v1
	v_and_or_b32 v10, 0xffe, v20, v10
	s_wait_alu 0xfffd
	v_cndmask_b32_e32 v4, v12, v4, vcc_lo
	v_cvt_f32_f16_e32 v12, v13
	v_cmp_lt_i32_e32 vcc_lo, 5, v16
	v_sub_nc_u32_e32 v20, 0x3f1, v21
	v_or_b32_e32 v16, 0x1000, v10
	v_and_or_b32 v5, 0x8000, v5, v4
	v_cvt_f64_f32_e32 v[12:13], v12
	s_or_b32 vcc_lo, s0, vcc_lo
	v_med3_i32 v20, v20, 0, 13
	s_wait_alu 0xfffe
	v_add_co_ci_u32_e32 v15, vcc_lo, 0, v15, vcc_lo
	v_cmp_ne_u32_e32 vcc_lo, 0, v24
	v_cvt_f32_f16_e32 v1, v1
	v_lshrrev_b32_e32 v23, v20, v16
	s_wait_alu 0xfffd
	v_cndmask_b32_e64 v22, 0, 1, vcc_lo
	v_cmp_gt_i32_e32 vcc_lo, 31, v18
	s_delay_alu instid0(VALU_DEP_3) | instskip(NEXT) | instid1(VALU_DEP_3)
	v_lshlrev_b32_e32 v4, v20, v23
	v_lshl_or_b32 v22, v22, 9, 0x7c00
	s_wait_alu 0xfffd
	v_cndmask_b32_e32 v15, 0x7c00, v15, vcc_lo
	v_cmp_eq_u32_e32 vcc_lo, 0x40f, v18
	v_lshrrev_b32_e32 v18, 16, v3
	v_and_or_b32 v3, 0x1ff, v9, v8
	v_lshrrev_b32_e32 v20, 8, v9
	s_wait_alu 0xfffd
	v_cndmask_b32_e32 v15, v15, v22, vcc_lo
	v_cmp_ne_u32_e32 vcc_lo, v4, v16
	v_add_nc_u32_e32 v16, 0xfffffc10, v21
	v_bfe_u32 v21, v9, 20, 11
	s_delay_alu instid0(VALU_DEP_4)
	v_and_or_b32 v14, 0x8000, v18, v15
	s_wait_alu 0xfffd
	v_cndmask_b32_e64 v8, 0, 1, vcc_lo
	v_cmp_ne_u32_e32 vcc_lo, 0, v3
	v_cvt_f64_f32_e32 v[3:4], v1
	v_lshl_or_b32 v22, v16, 12, v10
	ds_load_2addr_b32 v[0:1], v0 offset0:120 offset1:172
	v_or_b32_e32 v8, v23, v8
	s_wait_alu 0xfffd
	v_cndmask_b32_e64 v19, 0, 1, vcc_lo
	v_cmp_gt_i32_e32 vcc_lo, 1, v16
	v_and_b32_e32 v15, 0xffff, v5
	v_mul_f64_e32 v[12:13], s[8:9], v[12:13]
	s_delay_alu instid0(VALU_DEP_4)
	v_and_or_b32 v19, 0xffe, v20, v19
	v_sub_nc_u32_e32 v20, 0x3f1, v21
	s_wait_alu 0xfffd
	v_cndmask_b32_e32 v8, v22, v8, vcc_lo
	v_add_co_u32 v5, vcc_lo, v6, s2
	v_or_b32_e32 v22, 0x1000, v19
	v_med3_i32 v20, v20, 0, 13
	s_delay_alu instid0(VALU_DEP_4)
	v_and_b32_e32 v18, 7, v8
	s_wait_alu 0xfffd
	v_add_co_ci_u32_e32 v6, vcc_lo, s3, v7, vcc_lo
	v_lshrrev_b32_e32 v8, 2, v8
	v_lshrrev_b32_e32 v23, v20, v22
	v_cmp_lt_i32_e32 vcc_lo, 5, v18
	v_cmp_eq_u32_e64 s0, 3, v18
	s_wait_dscnt 0x0
	v_lshrrev_b32_e32 v18, 16, v0
	v_lshl_or_b32 v24, v14, 16, v15
	v_lshlrev_b32_e32 v7, v20, v23
	v_add_nc_u32_e32 v20, 0xfffffc10, v21
	s_or_b32 vcc_lo, s0, vcc_lo
	v_mul_f16_e32 v14, v25, v18
	s_wait_alu 0xfffe
	v_add_co_ci_u32_e32 v8, vcc_lo, 0, v8, vcc_lo
	v_cmp_ne_u32_e64 s1, v7, v22
	v_cmp_ne_u32_e32 vcc_lo, 0, v10
	v_lshl_or_b32 v15, v20, 12, v19
	v_fmac_f16_e32 v14, v51, v0
	v_mul_f16_e32 v0, v25, v0
	s_wait_alu 0xf1ff
	v_cndmask_b32_e64 v7, 0, 1, s1
	s_wait_alu 0xfffd
	v_cndmask_b32_e64 v10, 0, 1, vcc_lo
	v_mul_f64_e32 v[3:4], s[8:9], v[3:4]
	v_cmp_gt_i32_e32 vcc_lo, 1, v20
	v_fma_f16 v0, v51, v18, -v0
	v_or_b32_e32 v7, v23, v7
	v_lshl_or_b32 v10, v10, 9, 0x7c00
	s_delay_alu instid0(VALU_DEP_3) | instskip(SKIP_1) | instid1(VALU_DEP_3)
	v_cvt_f32_f16_e32 v0, v0
	s_wait_alu 0xfffd
	v_cndmask_b32_e32 v21, v15, v7, vcc_lo
	v_cvt_f32_f16_e32 v7, v14
	v_cmp_gt_i32_e32 vcc_lo, 31, v16
	v_and_or_b32 v12, 0x1ff, v13, v12
	s_delay_alu instid0(VALU_DEP_4)
	v_and_b32_e32 v23, 7, v21
	v_lshrrev_b32_e32 v21, 2, v21
	s_wait_alu 0xfffd
	v_cndmask_b32_e32 v22, 0x7c00, v8, vcc_lo
	v_cvt_f64_f32_e32 v[7:8], v7
	v_add_co_u32 v14, vcc_lo, v5, s6
	s_wait_alu 0xfffd
	v_add_co_ci_u32_e32 v15, vcc_lo, s7, v6, vcc_lo
	v_cmp_eq_u32_e32 vcc_lo, 0x40f, v16
	v_cmp_ne_u32_e64 s0, 0, v12
	v_lshrrev_b32_e32 v16, 8, v13
	global_store_b32 v[5:6], v17, off
	global_store_b32 v[14:15], v24, off
	v_lshrrev_b32_e32 v24, 16, v50
	s_wait_alu 0xfffd
	v_cndmask_b32_e32 v10, v22, v10, vcc_lo
	v_cmp_lt_i32_e32 vcc_lo, 5, v23
	s_wait_alu 0xf1ff
	v_cndmask_b32_e64 v12, 0, 1, s0
	v_cmp_eq_u32_e64 s0, 3, v23
	v_bfe_u32 v22, v13, 20, 11
	v_and_or_b32 v11, 0x8000, v11, v10
	v_lshrrev_b32_e32 v13, 16, v13
	v_and_or_b32 v16, 0xffe, v16, v12
	s_or_b32 vcc_lo, s0, vcc_lo
	v_sub_nc_u32_e32 v12, 0x3f1, v22
	s_wait_alu 0xfffe
	v_add_co_ci_u32_e32 v21, vcc_lo, 0, v21, vcc_lo
	v_cmp_ne_u32_e32 vcc_lo, 0, v19
	v_or_b32_e32 v23, 0x1000, v16
	v_med3_i32 v12, v12, 0, 13
	v_and_or_b32 v3, 0x1ff, v4, v3
	v_add_nc_u32_e32 v18, 0xfffffc10, v22
	s_wait_alu 0xfffd
	v_cndmask_b32_e64 v19, 0, 1, vcc_lo
	v_cmp_gt_i32_e32 vcc_lo, 31, v20
	v_lshrrev_b32_e32 v10, v12, v23
	v_and_b32_e32 v11, 0xffff, v11
	v_cmp_eq_u32_e64 s1, 0x40f, v18
	v_lshl_or_b32 v19, v19, 9, 0x7c00
	s_wait_alu 0xfffd
	v_cndmask_b32_e32 v21, 0x7c00, v21, vcc_lo
	v_cmp_eq_u32_e32 vcc_lo, 0x40f, v20
	v_lshrrev_b32_e32 v20, 16, v9
	v_lshlrev_b32_e32 v9, v12, v10
	v_lshrrev_b32_e32 v12, 8, v4
	v_mul_f64_e32 v[7:8], s[8:9], v[7:8]
	s_wait_alu 0xfffd
	v_cndmask_b32_e32 v19, v21, v19, vcc_lo
	v_cmp_ne_u32_e32 vcc_lo, 0, v3
	v_bfe_u32 v21, v4, 20, 11
	v_lshrrev_b32_e32 v4, 16, v4
	s_wait_alu 0xfffd
	v_cndmask_b32_e64 v3, 0, 1, vcc_lo
	v_cmp_ne_u32_e32 vcc_lo, v9, v23
	v_lshl_or_b32 v23, v18, 12, v16
	s_delay_alu instid0(VALU_DEP_3)
	v_and_or_b32 v3, 0xffe, v12, v3
	s_wait_alu 0xfffd
	v_cndmask_b32_e64 v9, 0, 1, vcc_lo
	v_sub_nc_u32_e32 v12, 0x3f1, v21
	v_cmp_gt_i32_e32 vcc_lo, 1, v18
	v_or_b32_e32 v25, 0x1000, v3
	s_delay_alu instid0(VALU_DEP_4)
	v_or_b32_e32 v22, v10, v9
	v_cvt_f64_f32_e32 v[9:10], v0
	v_med3_i32 v0, v12, 0, 13
	v_and_or_b32 v12, 0x8000, v20, v19
	s_wait_alu 0xfffd
	v_cndmask_b32_e32 v19, v23, v22, vcc_lo
	v_add_co_u32 v5, vcc_lo, v14, s2
	v_lshrrev_b32_e32 v20, v0, v25
	v_lshl_or_b32 v17, v12, 16, v11
	s_delay_alu instid0(VALU_DEP_4)
	v_and_b32_e32 v11, 7, v19
	v_lshrrev_b32_e32 v14, 16, v2
	s_wait_alu 0xfffd
	v_add_co_ci_u32_e32 v6, vcc_lo, s3, v15, vcc_lo
	v_lshlrev_b32_e32 v0, v0, v20
	v_cmp_lt_i32_e32 vcc_lo, 5, v11
	v_add_nc_u32_e32 v15, 0xfffffc10, v21
	v_mul_f16_e32 v12, v24, v14
	s_delay_alu instid0(VALU_DEP_4) | instskip(SKIP_2) | instid1(VALU_DEP_4)
	v_cmp_ne_u32_e64 s0, v0, v25
	v_and_or_b32 v7, 0x1ff, v8, v7
	v_bfe_u32 v21, v8, 20, 11
	v_fmac_f16_e32 v12, v50, v2
	s_wait_alu 0xf1ff
	v_cndmask_b32_e64 v0, 0, 1, s0
	v_cmp_eq_u32_e64 s0, 3, v11
	v_lshrrev_b32_e32 v11, 2, v19
	v_lshl_or_b32 v19, v15, 12, v3
	s_delay_alu instid0(VALU_DEP_4) | instskip(NEXT) | instid1(VALU_DEP_4)
	v_or_b32_e32 v0, v20, v0
	s_or_b32 vcc_lo, s0, vcc_lo
	s_wait_alu 0xfffe
	v_add_co_ci_u32_e32 v20, vcc_lo, 0, v11, vcc_lo
	v_cmp_gt_i32_e32 vcc_lo, 1, v15
	v_cvt_f32_f16_e32 v11, v12
	s_wait_alu 0xfffd
	v_cndmask_b32_e32 v0, v19, v0, vcc_lo
	v_cmp_ne_u32_e32 vcc_lo, 0, v7
	s_delay_alu instid0(VALU_DEP_3)
	v_cvt_f64_f32_e32 v[11:12], v11
	v_lshrrev_b32_e32 v19, 8, v8
	v_mul_f64_e32 v[9:10], s[8:9], v[9:10]
	v_and_b32_e32 v22, 7, v0
	s_wait_alu 0xfffd
	v_cndmask_b32_e64 v7, 0, 1, vcc_lo
	v_cmp_ne_u32_e32 vcc_lo, 0, v16
	v_lshrrev_b32_e32 v0, 2, v0
	v_cmp_eq_u32_e64 s0, 3, v22
	s_delay_alu instid0(VALU_DEP_4)
	v_and_or_b32 v7, 0xffe, v19, v7
	s_wait_alu 0xfffd
	v_cndmask_b32_e64 v16, 0, 1, vcc_lo
	v_cmp_gt_i32_e32 vcc_lo, 31, v18
	v_sub_nc_u32_e32 v19, 0x3f1, v21
	v_or_b32_e32 v23, 0x1000, v7
	s_delay_alu instid0(VALU_DEP_4) | instskip(SKIP_4) | instid1(VALU_DEP_3)
	v_lshl_or_b32 v16, v16, 9, 0x7c00
	s_wait_alu 0xfffd
	v_cndmask_b32_e32 v20, 0x7c00, v20, vcc_lo
	v_cmp_lt_i32_e32 vcc_lo, 5, v22
	v_med3_i32 v19, v19, 0, 13
	v_cndmask_b32_e64 v16, v20, v16, s1
	s_or_b32 vcc_lo, s0, vcc_lo
	s_delay_alu instid0(VALU_DEP_2)
	v_lshrrev_b32_e32 v18, v19, v23
	s_wait_alu 0xfffe
	v_add_co_ci_u32_e32 v0, vcc_lo, 0, v0, vcc_lo
	v_cmp_ne_u32_e32 vcc_lo, 0, v3
	v_and_or_b32 v13, 0x8000, v13, v16
	v_lshlrev_b32_e32 v19, v19, v18
	v_add_nc_u32_e32 v16, 0xfffffc10, v21
	s_wait_alu 0xfffd
	v_cndmask_b32_e64 v3, 0, 1, vcc_lo
	v_cmp_gt_i32_e32 vcc_lo, 31, v15
	v_and_b32_e32 v13, 0xffff, v13
	s_delay_alu instid0(VALU_DEP_3)
	v_lshl_or_b32 v3, v3, 9, 0x7c00
	s_wait_alu 0xfffd
	v_cndmask_b32_e32 v0, 0x7c00, v0, vcc_lo
	v_cmp_ne_u32_e32 vcc_lo, v19, v23
	v_lshrrev_b32_e32 v23, 16, v49
	v_and_or_b32 v9, 0x1ff, v10, v9
	s_wait_alu 0xfffd
	v_cndmask_b32_e64 v19, 0, 1, vcc_lo
	v_cmp_eq_u32_e32 vcc_lo, 0x40f, v15
	s_delay_alu instid0(VALU_DEP_2)
	v_or_b32_e32 v15, v18, v19
	s_wait_alu 0xfffd
	v_cndmask_b32_e32 v0, v0, v3, vcc_lo
	v_mul_f16_e32 v18, v24, v2
	v_mul_f64_e32 v[2:3], s[8:9], v[11:12]
	v_lshl_or_b32 v11, v16, 12, v7
	v_cmp_gt_i32_e32 vcc_lo, 1, v16
	v_and_or_b32 v0, 0x8000, v4, v0
	v_fma_f16 v12, v50, v14, -v18
	v_bfe_u32 v18, v10, 20, 11
	v_lshrrev_b32_e32 v19, 16, v1
	s_wait_alu 0xfffd
	v_cndmask_b32_e32 v14, v11, v15, vcc_lo
	v_cmp_ne_u32_e32 vcc_lo, 0, v9
	v_cvt_f32_f16_e32 v11, v12
	v_lshrrev_b32_e32 v15, 8, v10
	v_mul_f16_e32 v21, v23, v19
	v_and_b32_e32 v4, 7, v14
	s_wait_alu 0xfffd
	v_cndmask_b32_e64 v9, 0, 1, vcc_lo
	v_cvt_f64_f32_e32 v[11:12], v11
	v_fmac_f16_e32 v21, v49, v1
	v_cmp_lt_i32_e32 vcc_lo, 5, v4
	s_delay_alu instid0(VALU_DEP_4)
	v_and_or_b32 v9, 0xffe, v15, v9
	v_sub_nc_u32_e32 v15, 0x3f1, v18
	v_cmp_eq_u32_e64 s0, 3, v4
	v_lshl_or_b32 v4, v0, 16, v13
	v_lshrrev_b32_e32 v0, 2, v14
	v_or_b32_e32 v20, 0x1000, v9
	v_med3_i32 v15, v15, 0, 13
	s_or_b32 vcc_lo, s0, vcc_lo
	v_cvt_f32_f16_e32 v13, v21
	s_wait_alu 0xfffe
	v_add_co_ci_u32_e32 v0, vcc_lo, 0, v0, vcc_lo
	v_lshrrev_b32_e32 v22, v15, v20
	v_cmp_ne_u32_e32 vcc_lo, 0, v7
	v_cvt_f64_f32_e32 v[13:14], v13
	v_mul_f16_e32 v1, v23, v1
	s_delay_alu instid0(VALU_DEP_4) | instskip(SKIP_4) | instid1(VALU_DEP_3)
	v_lshlrev_b32_e32 v15, v15, v22
	s_wait_alu 0xfffd
	v_cndmask_b32_e64 v7, 0, 1, vcc_lo
	v_cmp_gt_i32_e32 vcc_lo, 31, v16
	v_fma_f16 v19, v49, v19, -v1
	v_lshl_or_b32 v7, v7, 9, 0x7c00
	s_wait_alu 0xfffd
	v_cndmask_b32_e32 v21, 0x7c00, v0, vcc_lo
	v_and_or_b32 v0, 0x1ff, v3, v2
	v_cmp_ne_u32_e32 vcc_lo, v15, v20
	v_add_nc_u32_e32 v15, 0xfffffc10, v18
	v_lshrrev_b32_e32 v18, 8, v3
	v_bfe_u32 v20, v3, 20, 11
	v_lshrrev_b32_e32 v3, 16, v3
	s_wait_alu 0xfffd
	v_cndmask_b32_e64 v2, 0, 1, vcc_lo
	v_cmp_ne_u32_e32 vcc_lo, 0, v0
	s_delay_alu instid0(VALU_DEP_2) | instskip(SKIP_4) | instid1(VALU_DEP_3)
	v_or_b32_e32 v2, v22, v2
	s_wait_alu 0xfffd
	v_cndmask_b32_e64 v0, 0, 1, vcc_lo
	v_lshl_or_b32 v22, v15, 12, v9
	v_cmp_gt_i32_e32 vcc_lo, 1, v15
	v_and_or_b32 v18, 0xffe, v18, v0
	v_mul_f64_e32 v[0:1], s[8:9], v[11:12]
	v_sub_nc_u32_e32 v11, 0x3f1, v20
	v_cvt_f32_f16_e32 v12, v19
	s_wait_alu 0xfffd
	v_cndmask_b32_e32 v2, v22, v2, vcc_lo
	v_cmp_eq_u32_e32 vcc_lo, 0x40f, v16
	v_or_b32_e32 v19, 0x1000, v18
	v_med3_i32 v22, v11, 0, 13
	v_cvt_f64_f32_e32 v[11:12], v12
	s_wait_alu 0xfffd
	v_dual_cndmask_b32 v16, v21, v7 :: v_dual_and_b32 v23, 7, v2
	v_add_co_u32 v7, vcc_lo, v5, s6
	v_lshrrev_b32_e32 v24, v22, v19
	v_lshrrev_b32_e32 v21, 16, v8
	s_wait_alu 0xfffd
	v_add_co_ci_u32_e32 v8, vcc_lo, s7, v6, vcc_lo
	v_cmp_lt_i32_e32 vcc_lo, 5, v23
	v_cmp_eq_u32_e64 s0, 3, v23
	v_lshrrev_b32_e32 v2, 2, v2
	v_lshlrev_b32_e32 v22, v22, v24
	v_mul_f64_e32 v[13:14], s[8:9], v[13:14]
	v_add_nc_u32_e32 v20, 0xfffffc10, v20
	s_or_b32 vcc_lo, s0, vcc_lo
	v_and_or_b32 v16, 0x8000, v21, v16
	s_wait_alu 0xfffe
	v_add_co_ci_u32_e32 v2, vcc_lo, 0, v2, vcc_lo
	v_cmp_ne_u32_e64 s1, v22, v19
	v_cmp_ne_u32_e32 vcc_lo, 0, v9
	v_lshl_or_b32 v21, v20, 12, v18
	s_wait_alu 0xf1ff
	s_delay_alu instid0(VALU_DEP_3) | instskip(SKIP_3) | instid1(VALU_DEP_3)
	v_cndmask_b32_e64 v19, 0, 1, s1
	s_wait_alu 0xfffd
	v_cndmask_b32_e64 v9, 0, 1, vcc_lo
	v_cmp_gt_i32_e32 vcc_lo, 31, v15
	v_or_b32_e32 v19, v24, v19
	s_delay_alu instid0(VALU_DEP_3)
	v_lshl_or_b32 v9, v9, 9, 0x7c00
	s_wait_alu 0xfffd
	v_cndmask_b32_e32 v2, 0x7c00, v2, vcc_lo
	v_cmp_gt_i32_e32 vcc_lo, 1, v20
	v_and_or_b32 v0, 0x1ff, v1, v0
	v_lshrrev_b32_e32 v22, 8, v1
	s_wait_alu 0xfffd
	v_cndmask_b32_e32 v19, v21, v19, vcc_lo
	v_cmp_eq_u32_e32 vcc_lo, 0x40f, v15
	v_lshrrev_b32_e32 v15, 16, v10
	s_wait_alu 0xfffd
	s_delay_alu instid0(VALU_DEP_3)
	v_dual_cndmask_b32 v2, v2, v9 :: v_dual_and_b32 v21, 7, v19
	v_cmp_ne_u32_e32 vcc_lo, 0, v0
	v_mul_f64_e32 v[9:10], s[8:9], v[11:12]
	v_and_b32_e32 v12, 0xffff, v16
	v_bfe_u32 v11, v1, 20, 11
	v_and_or_b32 v2, 0x8000, v15, v2
	s_wait_alu 0xfffd
	v_cndmask_b32_e64 v0, 0, 1, vcc_lo
	v_cmp_lt_i32_e32 vcc_lo, 5, v21
	v_cmp_eq_u32_e64 s0, 3, v21
	v_sub_nc_u32_e32 v15, 0x3f1, v11
	v_add_nc_u32_e32 v11, 0xfffffc10, v11
	v_lshl_or_b32 v12, v2, 16, v12
	v_lshrrev_b32_e32 v2, 2, v19
	v_and_or_b32 v0, 0xffe, v22, v0
	s_or_b32 vcc_lo, s0, vcc_lo
	v_med3_i32 v15, v15, 0, 13
	v_and_or_b32 v13, 0x1ff, v14, v13
	s_wait_alu 0xfffe
	v_add_co_ci_u32_e32 v2, vcc_lo, 0, v2, vcc_lo
	v_or_b32_e32 v16, 0x1000, v0
	v_cmp_ne_u32_e32 vcc_lo, 0, v18
	v_lshrrev_b32_e32 v21, 8, v14
	v_bfe_u32 v22, v14, 20, 11
	v_lshrrev_b32_e32 v1, 16, v1
	v_lshrrev_b32_e32 v19, v15, v16
	s_wait_alu 0xfffd
	v_cndmask_b32_e64 v18, 0, 1, vcc_lo
	v_cmp_gt_i32_e32 vcc_lo, 31, v20
	s_delay_alu instid0(VALU_DEP_3) | instskip(NEXT) | instid1(VALU_DEP_3)
	v_lshlrev_b32_e32 v15, v15, v19
	v_lshl_or_b32 v18, v18, 9, 0x7c00
	s_wait_alu 0xfffd
	v_cndmask_b32_e32 v2, 0x7c00, v2, vcc_lo
	v_cmp_ne_u32_e32 vcc_lo, 0, v13
	s_wait_alu 0xfffd
	v_cndmask_b32_e64 v13, 0, 1, vcc_lo
	v_cmp_ne_u32_e32 vcc_lo, v15, v16
	v_sub_nc_u32_e32 v16, 0x3f1, v22
	v_and_or_b32 v9, 0x1ff, v10, v9
	s_delay_alu instid0(VALU_DEP_4)
	v_and_or_b32 v13, 0xffe, v21, v13
	s_wait_alu 0xfffd
	v_cndmask_b32_e64 v15, 0, 1, vcc_lo
	v_cmp_eq_u32_e32 vcc_lo, 0x40f, v20
	v_med3_i32 v16, v16, 0, 13
	v_lshrrev_b32_e32 v20, 8, v10
	v_bfe_u32 v21, v10, 20, 11
	v_or_b32_e32 v15, v19, v15
	s_wait_alu 0xfffd
	v_cndmask_b32_e32 v2, v2, v18, vcc_lo
	v_lshl_or_b32 v18, v11, 12, v0
	v_or_b32_e32 v19, 0x1000, v13
	v_cmp_gt_i32_e32 vcc_lo, 1, v11
	s_delay_alu instid0(VALU_DEP_4)
	v_and_or_b32 v2, 0x8000, v3, v2
	s_wait_alu 0xfffd
	v_cndmask_b32_e32 v15, v18, v15, vcc_lo
	v_lshrrev_b32_e32 v18, v16, v19
	v_cmp_ne_u32_e32 vcc_lo, 0, v9
	v_and_b32_e32 v2, 0xffff, v2
	s_delay_alu instid0(VALU_DEP_4) | instskip(NEXT) | instid1(VALU_DEP_4)
	v_and_b32_e32 v23, 7, v15
	v_lshlrev_b32_e32 v16, v16, v18
	s_wait_alu 0xfffd
	v_cndmask_b32_e64 v9, 0, 1, vcc_lo
	v_lshrrev_b32_e32 v15, 2, v15
	v_cmp_lt_i32_e32 vcc_lo, 5, v23
	v_cmp_ne_u32_e64 s0, v16, v19
	s_delay_alu instid0(VALU_DEP_4)
	v_and_or_b32 v3, 0xffe, v20, v9
	v_sub_nc_u32_e32 v9, 0x3f1, v21
	v_add_nc_u32_e32 v20, 0xfffffc10, v22
	s_wait_alu 0xf1ff
	v_cndmask_b32_e64 v16, 0, 1, s0
	v_cmp_eq_u32_e64 s0, 3, v23
	v_or_b32_e32 v19, 0x1000, v3
	v_med3_i32 v9, v9, 0, 13
	v_lshl_or_b32 v22, v20, 12, v13
	v_or_b32_e32 v16, v18, v16
	s_or_b32 vcc_lo, s0, vcc_lo
	s_wait_alu 0xfffe
	v_add_co_ci_u32_e32 v15, vcc_lo, 0, v15, vcc_lo
	v_lshrrev_b32_e32 v18, v9, v19
	v_cmp_gt_i32_e32 vcc_lo, 1, v20
	s_wait_alu 0xfffd
	s_delay_alu instid0(VALU_DEP_2) | instskip(SKIP_3) | instid1(VALU_DEP_3)
	v_dual_cndmask_b32 v16, v22, v16 :: v_dual_lshlrev_b32 v9, v9, v18
	v_cmp_ne_u32_e32 vcc_lo, 0, v0
	s_wait_alu 0xfffd
	v_cndmask_b32_e64 v0, 0, 1, vcc_lo
	v_cmp_ne_u32_e32 vcc_lo, v9, v19
	v_add_nc_u32_e32 v19, 0xfffffc10, v21
	v_and_b32_e32 v21, 7, v16
	s_delay_alu instid0(VALU_DEP_4)
	v_lshl_or_b32 v0, v0, 9, 0x7c00
	s_wait_alu 0xfffd
	v_cndmask_b32_e64 v9, 0, 1, vcc_lo
	v_cmp_gt_i32_e32 vcc_lo, 31, v11
	v_cmp_gt_i32_e64 s1, 1, v19
	v_cmp_eq_u32_e64 s0, 3, v21
	s_delay_alu instid0(VALU_DEP_4)
	v_or_b32_e32 v9, v18, v9
	v_lshl_or_b32 v18, v19, 12, v3
	s_wait_alu 0xfffd
	v_cndmask_b32_e32 v15, 0x7c00, v15, vcc_lo
	v_cmp_lt_i32_e32 vcc_lo, 5, v21
	s_wait_alu 0xf1ff
	v_cndmask_b32_e64 v9, v18, v9, s1
	v_cmp_eq_u32_e64 s1, 0x40f, v11
	v_lshrrev_b32_e32 v11, 2, v16
	s_or_b32 vcc_lo, s0, vcc_lo
	s_delay_alu instid0(VALU_DEP_2) | instskip(SKIP_1) | instid1(VALU_DEP_2)
	v_cndmask_b32_e64 v0, v15, v0, s1
	s_wait_alu 0xfffe
	v_add_co_ci_u32_e32 v11, vcc_lo, 0, v11, vcc_lo
	v_and_b32_e32 v15, 7, v9
	v_cmp_ne_u32_e32 vcc_lo, 0, v13
	v_lshrrev_b32_e32 v9, 2, v9
	v_cmp_gt_i32_e64 s1, 31, v20
	s_delay_alu instid0(VALU_DEP_4)
	v_cmp_eq_u32_e64 s0, 3, v15
	s_wait_alu 0xfffd
	v_cndmask_b32_e64 v13, 0, 1, vcc_lo
	v_cmp_lt_i32_e32 vcc_lo, 5, v15
	s_wait_alu 0xf1ff
	v_cndmask_b32_e64 v11, 0x7c00, v11, s1
	s_delay_alu instid0(VALU_DEP_3)
	v_lshl_or_b32 v13, v13, 9, 0x7c00
	s_or_b32 vcc_lo, s0, vcc_lo
	s_wait_alu 0xfffe
	v_add_co_ci_u32_e32 v9, vcc_lo, 0, v9, vcc_lo
	v_cmp_ne_u32_e32 vcc_lo, 0, v3
	s_wait_alu 0xfffd
	v_cndmask_b32_e64 v3, 0, 1, vcc_lo
	v_cmp_eq_u32_e32 vcc_lo, 0x40f, v20
	s_delay_alu instid0(VALU_DEP_2)
	v_lshl_or_b32 v3, v3, 9, 0x7c00
	s_wait_alu 0xfffd
	v_cndmask_b32_e32 v11, v11, v13, vcc_lo
	v_cmp_gt_i32_e32 vcc_lo, 31, v19
	v_lshrrev_b32_e32 v13, 16, v14
	v_and_or_b32 v14, 0x8000, v1, v0
	s_wait_alu 0xfffd
	v_cndmask_b32_e32 v9, 0x7c00, v9, vcc_lo
	v_cmp_eq_u32_e32 vcc_lo, 0x40f, v19
	v_and_or_b32 v11, 0x8000, v13, v11
	v_lshl_or_b32 v13, v14, 16, v2
	s_wait_alu 0xfffd
	v_cndmask_b32_e32 v3, v9, v3, vcc_lo
	v_lshrrev_b32_e32 v9, 16, v10
	v_add_co_u32 v0, vcc_lo, v7, s2
	s_wait_alu 0xfffd
	v_add_co_ci_u32_e32 v1, vcc_lo, s3, v8, vcc_lo
	s_delay_alu instid0(VALU_DEP_3) | instskip(SKIP_4) | instid1(VALU_DEP_3)
	v_and_or_b32 v9, 0x8000, v9, v3
	v_and_b32_e32 v10, 0xffff, v11
	v_add_co_u32 v2, vcc_lo, v0, s6
	s_wait_alu 0xfffd
	v_add_co_ci_u32_e32 v3, vcc_lo, s7, v1, vcc_lo
	v_lshl_or_b32 v11, v9, 16, v10
	s_delay_alu instid0(VALU_DEP_3) | instskip(SKIP_1) | instid1(VALU_DEP_3)
	v_add_co_u32 v9, vcc_lo, v2, s2
	s_wait_alu 0xfffd
	v_add_co_ci_u32_e32 v10, vcc_lo, s3, v3, vcc_lo
	global_store_b32 v[5:6], v17, off
	global_store_b32 v[7:8], v4, off
	;; [unrolled: 1-line block ×5, first 2 shown]
.LBB0_10:
	s_nop 0
	s_sendmsg sendmsg(MSG_DEALLOC_VGPRS)
	s_endpgm
	.section	.rodata,"a",@progbits
	.p2align	6, 0x0
	.amdhsa_kernel bluestein_single_fwd_len1248_dim1_half_op_CI_CI
		.amdhsa_group_segment_fixed_size 4992
		.amdhsa_private_segment_fixed_size 8
		.amdhsa_kernarg_size 104
		.amdhsa_user_sgpr_count 2
		.amdhsa_user_sgpr_dispatch_ptr 0
		.amdhsa_user_sgpr_queue_ptr 0
		.amdhsa_user_sgpr_kernarg_segment_ptr 1
		.amdhsa_user_sgpr_dispatch_id 0
		.amdhsa_user_sgpr_private_segment_size 0
		.amdhsa_wavefront_size32 1
		.amdhsa_uses_dynamic_stack 0
		.amdhsa_enable_private_segment 1
		.amdhsa_system_sgpr_workgroup_id_x 1
		.amdhsa_system_sgpr_workgroup_id_y 0
		.amdhsa_system_sgpr_workgroup_id_z 0
		.amdhsa_system_sgpr_workgroup_info 0
		.amdhsa_system_vgpr_workitem_id 0
		.amdhsa_next_free_vgpr 256
		.amdhsa_next_free_sgpr 20
		.amdhsa_reserve_vcc 1
		.amdhsa_float_round_mode_32 0
		.amdhsa_float_round_mode_16_64 0
		.amdhsa_float_denorm_mode_32 3
		.amdhsa_float_denorm_mode_16_64 3
		.amdhsa_fp16_overflow 0
		.amdhsa_workgroup_processor_mode 1
		.amdhsa_memory_ordered 1
		.amdhsa_forward_progress 0
		.amdhsa_round_robin_scheduling 0
		.amdhsa_exception_fp_ieee_invalid_op 0
		.amdhsa_exception_fp_denorm_src 0
		.amdhsa_exception_fp_ieee_div_zero 0
		.amdhsa_exception_fp_ieee_overflow 0
		.amdhsa_exception_fp_ieee_underflow 0
		.amdhsa_exception_fp_ieee_inexact 0
		.amdhsa_exception_int_div_zero 0
	.end_amdhsa_kernel
	.text
.Lfunc_end0:
	.size	bluestein_single_fwd_len1248_dim1_half_op_CI_CI, .Lfunc_end0-bluestein_single_fwd_len1248_dim1_half_op_CI_CI
                                        ; -- End function
	.section	.AMDGPU.csdata,"",@progbits
; Kernel info:
; codeLenInByte = 55152
; NumSgprs: 22
; NumVgprs: 256
; ScratchSize: 8
; MemoryBound: 0
; FloatMode: 240
; IeeeMode: 1
; LDSByteSize: 4992 bytes/workgroup (compile time only)
; SGPRBlocks: 2
; VGPRBlocks: 31
; NumSGPRsForWavesPerEU: 22
; NumVGPRsForWavesPerEU: 256
; Occupancy: 5
; WaveLimiterHint : 1
; COMPUTE_PGM_RSRC2:SCRATCH_EN: 1
; COMPUTE_PGM_RSRC2:USER_SGPR: 2
; COMPUTE_PGM_RSRC2:TRAP_HANDLER: 0
; COMPUTE_PGM_RSRC2:TGID_X_EN: 1
; COMPUTE_PGM_RSRC2:TGID_Y_EN: 0
; COMPUTE_PGM_RSRC2:TGID_Z_EN: 0
; COMPUTE_PGM_RSRC2:TIDIG_COMP_CNT: 0
	.text
	.p2alignl 7, 3214868480
	.fill 96, 4, 3214868480
	.type	__hip_cuid_c873caa03090ddb1,@object ; @__hip_cuid_c873caa03090ddb1
	.section	.bss,"aw",@nobits
	.globl	__hip_cuid_c873caa03090ddb1
__hip_cuid_c873caa03090ddb1:
	.byte	0                               ; 0x0
	.size	__hip_cuid_c873caa03090ddb1, 1

	.ident	"AMD clang version 19.0.0git (https://github.com/RadeonOpenCompute/llvm-project roc-6.4.0 25133 c7fe45cf4b819c5991fe208aaa96edf142730f1d)"
	.section	".note.GNU-stack","",@progbits
	.addrsig
	.addrsig_sym __hip_cuid_c873caa03090ddb1
	.amdgpu_metadata
---
amdhsa.kernels:
  - .args:
      - .actual_access:  read_only
        .address_space:  global
        .offset:         0
        .size:           8
        .value_kind:     global_buffer
      - .actual_access:  read_only
        .address_space:  global
        .offset:         8
        .size:           8
        .value_kind:     global_buffer
      - .actual_access:  read_only
        .address_space:  global
        .offset:         16
        .size:           8
        .value_kind:     global_buffer
      - .actual_access:  read_only
        .address_space:  global
        .offset:         24
        .size:           8
        .value_kind:     global_buffer
      - .actual_access:  read_only
        .address_space:  global
        .offset:         32
        .size:           8
        .value_kind:     global_buffer
      - .offset:         40
        .size:           8
        .value_kind:     by_value
      - .address_space:  global
        .offset:         48
        .size:           8
        .value_kind:     global_buffer
      - .address_space:  global
        .offset:         56
        .size:           8
        .value_kind:     global_buffer
      - .address_space:  global
        .offset:         64
        .size:           8
        .value_kind:     global_buffer
      - .address_space:  global
        .offset:         72
        .size:           8
        .value_kind:     global_buffer
      - .offset:         80
        .size:           4
        .value_kind:     by_value
      - .address_space:  global
        .offset:         88
        .size:           8
        .value_kind:     global_buffer
      - .address_space:  global
        .offset:         96
        .size:           8
        .value_kind:     global_buffer
    .group_segment_fixed_size: 4992
    .kernarg_segment_align: 8
    .kernarg_segment_size: 104
    .language:       OpenCL C
    .language_version:
      - 2
      - 0
    .max_flat_workgroup_size: 52
    .name:           bluestein_single_fwd_len1248_dim1_half_op_CI_CI
    .private_segment_fixed_size: 8
    .sgpr_count:     22
    .sgpr_spill_count: 0
    .symbol:         bluestein_single_fwd_len1248_dim1_half_op_CI_CI.kd
    .uniform_work_group_size: 1
    .uses_dynamic_stack: false
    .vgpr_count:     256
    .vgpr_spill_count: 1
    .wavefront_size: 32
    .workgroup_processor_mode: 1
amdhsa.target:   amdgcn-amd-amdhsa--gfx1201
amdhsa.version:
  - 1
  - 2
...

	.end_amdgpu_metadata
